;; amdgpu-corpus repo=ROCm/rocFFT kind=compiled arch=gfx1100 opt=O3
	.text
	.amdgcn_target "amdgcn-amd-amdhsa--gfx1100"
	.amdhsa_code_object_version 6
	.protected	fft_rtc_back_len676_factors_13_13_4_wgs_52_tpt_52_half_ip_CI_sbrr_dirReg ; -- Begin function fft_rtc_back_len676_factors_13_13_4_wgs_52_tpt_52_half_ip_CI_sbrr_dirReg
	.globl	fft_rtc_back_len676_factors_13_13_4_wgs_52_tpt_52_half_ip_CI_sbrr_dirReg
	.p2align	8
	.type	fft_rtc_back_len676_factors_13_13_4_wgs_52_tpt_52_half_ip_CI_sbrr_dirReg,@function
fft_rtc_back_len676_factors_13_13_4_wgs_52_tpt_52_half_ip_CI_sbrr_dirReg: ; @fft_rtc_back_len676_factors_13_13_4_wgs_52_tpt_52_half_ip_CI_sbrr_dirReg
; %bb.0:
	s_clause 0x2
	s_load_b64 s[12:13], s[0:1], 0x18
	s_load_b128 s[4:7], s[0:1], 0x0
	s_load_b64 s[10:11], s[0:1], 0x50
	v_mul_u32_u24_e32 v1, 0x4ed, v0
	v_mov_b32_e32 v3, 0
	v_mov_b32_e32 v4, 0
	s_delay_alu instid0(VALU_DEP_3) | instskip(SKIP_1) | instid1(VALU_DEP_1)
	v_lshrrev_b32_e32 v2, 16, v1
	v_mov_b32_e32 v1, 0
	v_dual_mov_b32 v6, v1 :: v_dual_add_nc_u32 v5, s15, v2
	s_waitcnt lgkmcnt(0)
	s_load_b64 s[8:9], s[12:13], 0x0
	v_cmp_lt_u64_e64 s2, s[6:7], 2
	s_delay_alu instid0(VALU_DEP_1)
	s_and_b32 vcc_lo, exec_lo, s2
	s_cbranch_vccnz .LBB0_8
; %bb.1:
	s_load_b64 s[2:3], s[0:1], 0x10
	v_mov_b32_e32 v3, 0
	s_add_u32 s14, s12, 8
	v_mov_b32_e32 v4, 0
	s_addc_u32 s15, s13, 0
	s_mov_b64 s[18:19], 1
	s_waitcnt lgkmcnt(0)
	s_add_u32 s16, s2, 8
	s_addc_u32 s17, s3, 0
.LBB0_2:                                ; =>This Inner Loop Header: Depth=1
	s_load_b64 s[20:21], s[16:17], 0x0
                                        ; implicit-def: $vgpr7_vgpr8
	s_mov_b32 s2, exec_lo
	s_waitcnt lgkmcnt(0)
	v_or_b32_e32 v2, s21, v6
	s_delay_alu instid0(VALU_DEP_1)
	v_cmpx_ne_u64_e32 0, v[1:2]
	s_xor_b32 s3, exec_lo, s2
	s_cbranch_execz .LBB0_4
; %bb.3:                                ;   in Loop: Header=BB0_2 Depth=1
	v_cvt_f32_u32_e32 v2, s20
	v_cvt_f32_u32_e32 v7, s21
	s_sub_u32 s2, 0, s20
	s_subb_u32 s22, 0, s21
	s_delay_alu instid0(VALU_DEP_1) | instskip(NEXT) | instid1(VALU_DEP_1)
	v_fmac_f32_e32 v2, 0x4f800000, v7
	v_rcp_f32_e32 v2, v2
	s_waitcnt_depctr 0xfff
	v_mul_f32_e32 v2, 0x5f7ffffc, v2
	s_delay_alu instid0(VALU_DEP_1) | instskip(NEXT) | instid1(VALU_DEP_1)
	v_mul_f32_e32 v7, 0x2f800000, v2
	v_trunc_f32_e32 v7, v7
	s_delay_alu instid0(VALU_DEP_1) | instskip(SKIP_1) | instid1(VALU_DEP_2)
	v_fmac_f32_e32 v2, 0xcf800000, v7
	v_cvt_u32_f32_e32 v7, v7
	v_cvt_u32_f32_e32 v2, v2
	s_delay_alu instid0(VALU_DEP_2) | instskip(NEXT) | instid1(VALU_DEP_2)
	v_mul_lo_u32 v8, s2, v7
	v_mul_hi_u32 v9, s2, v2
	v_mul_lo_u32 v10, s22, v2
	s_delay_alu instid0(VALU_DEP_2) | instskip(SKIP_1) | instid1(VALU_DEP_2)
	v_add_nc_u32_e32 v8, v9, v8
	v_mul_lo_u32 v9, s2, v2
	v_add_nc_u32_e32 v8, v8, v10
	s_delay_alu instid0(VALU_DEP_2) | instskip(NEXT) | instid1(VALU_DEP_2)
	v_mul_hi_u32 v10, v2, v9
	v_mul_lo_u32 v11, v2, v8
	v_mul_hi_u32 v12, v2, v8
	v_mul_hi_u32 v13, v7, v9
	v_mul_lo_u32 v9, v7, v9
	v_mul_hi_u32 v14, v7, v8
	v_mul_lo_u32 v8, v7, v8
	v_add_co_u32 v10, vcc_lo, v10, v11
	v_add_co_ci_u32_e32 v11, vcc_lo, 0, v12, vcc_lo
	s_delay_alu instid0(VALU_DEP_2) | instskip(NEXT) | instid1(VALU_DEP_2)
	v_add_co_u32 v9, vcc_lo, v10, v9
	v_add_co_ci_u32_e32 v9, vcc_lo, v11, v13, vcc_lo
	v_add_co_ci_u32_e32 v10, vcc_lo, 0, v14, vcc_lo
	s_delay_alu instid0(VALU_DEP_2) | instskip(NEXT) | instid1(VALU_DEP_2)
	v_add_co_u32 v8, vcc_lo, v9, v8
	v_add_co_ci_u32_e32 v9, vcc_lo, 0, v10, vcc_lo
	s_delay_alu instid0(VALU_DEP_2) | instskip(NEXT) | instid1(VALU_DEP_2)
	v_add_co_u32 v2, vcc_lo, v2, v8
	v_add_co_ci_u32_e32 v7, vcc_lo, v7, v9, vcc_lo
	s_delay_alu instid0(VALU_DEP_2) | instskip(SKIP_1) | instid1(VALU_DEP_3)
	v_mul_hi_u32 v8, s2, v2
	v_mul_lo_u32 v10, s22, v2
	v_mul_lo_u32 v9, s2, v7
	s_delay_alu instid0(VALU_DEP_1) | instskip(SKIP_1) | instid1(VALU_DEP_2)
	v_add_nc_u32_e32 v8, v8, v9
	v_mul_lo_u32 v9, s2, v2
	v_add_nc_u32_e32 v8, v8, v10
	s_delay_alu instid0(VALU_DEP_2) | instskip(NEXT) | instid1(VALU_DEP_2)
	v_mul_hi_u32 v10, v2, v9
	v_mul_lo_u32 v11, v2, v8
	v_mul_hi_u32 v12, v2, v8
	v_mul_hi_u32 v13, v7, v9
	v_mul_lo_u32 v9, v7, v9
	v_mul_hi_u32 v14, v7, v8
	v_mul_lo_u32 v8, v7, v8
	v_add_co_u32 v10, vcc_lo, v10, v11
	v_add_co_ci_u32_e32 v11, vcc_lo, 0, v12, vcc_lo
	s_delay_alu instid0(VALU_DEP_2) | instskip(NEXT) | instid1(VALU_DEP_2)
	v_add_co_u32 v9, vcc_lo, v10, v9
	v_add_co_ci_u32_e32 v9, vcc_lo, v11, v13, vcc_lo
	v_add_co_ci_u32_e32 v10, vcc_lo, 0, v14, vcc_lo
	s_delay_alu instid0(VALU_DEP_2) | instskip(NEXT) | instid1(VALU_DEP_2)
	v_add_co_u32 v8, vcc_lo, v9, v8
	v_add_co_ci_u32_e32 v9, vcc_lo, 0, v10, vcc_lo
	s_delay_alu instid0(VALU_DEP_2) | instskip(NEXT) | instid1(VALU_DEP_2)
	v_add_co_u32 v2, vcc_lo, v2, v8
	v_add_co_ci_u32_e32 v13, vcc_lo, v7, v9, vcc_lo
	s_delay_alu instid0(VALU_DEP_2) | instskip(SKIP_1) | instid1(VALU_DEP_3)
	v_mul_hi_u32 v14, v5, v2
	v_mad_u64_u32 v[9:10], null, v6, v2, 0
	v_mad_u64_u32 v[7:8], null, v5, v13, 0
	;; [unrolled: 1-line block ×3, first 2 shown]
	s_delay_alu instid0(VALU_DEP_2) | instskip(NEXT) | instid1(VALU_DEP_3)
	v_add_co_u32 v2, vcc_lo, v14, v7
	v_add_co_ci_u32_e32 v7, vcc_lo, 0, v8, vcc_lo
	s_delay_alu instid0(VALU_DEP_2) | instskip(NEXT) | instid1(VALU_DEP_2)
	v_add_co_u32 v2, vcc_lo, v2, v9
	v_add_co_ci_u32_e32 v2, vcc_lo, v7, v10, vcc_lo
	v_add_co_ci_u32_e32 v7, vcc_lo, 0, v12, vcc_lo
	s_delay_alu instid0(VALU_DEP_2) | instskip(NEXT) | instid1(VALU_DEP_2)
	v_add_co_u32 v2, vcc_lo, v2, v11
	v_add_co_ci_u32_e32 v9, vcc_lo, 0, v7, vcc_lo
	s_delay_alu instid0(VALU_DEP_2) | instskip(SKIP_1) | instid1(VALU_DEP_3)
	v_mul_lo_u32 v10, s21, v2
	v_mad_u64_u32 v[7:8], null, s20, v2, 0
	v_mul_lo_u32 v11, s20, v9
	s_delay_alu instid0(VALU_DEP_2) | instskip(NEXT) | instid1(VALU_DEP_2)
	v_sub_co_u32 v7, vcc_lo, v5, v7
	v_add3_u32 v8, v8, v11, v10
	s_delay_alu instid0(VALU_DEP_1) | instskip(NEXT) | instid1(VALU_DEP_1)
	v_sub_nc_u32_e32 v10, v6, v8
	v_subrev_co_ci_u32_e64 v10, s2, s21, v10, vcc_lo
	v_add_co_u32 v11, s2, v2, 2
	s_delay_alu instid0(VALU_DEP_1) | instskip(SKIP_3) | instid1(VALU_DEP_3)
	v_add_co_ci_u32_e64 v12, s2, 0, v9, s2
	v_sub_co_u32 v13, s2, v7, s20
	v_sub_co_ci_u32_e32 v8, vcc_lo, v6, v8, vcc_lo
	v_subrev_co_ci_u32_e64 v10, s2, 0, v10, s2
	v_cmp_le_u32_e32 vcc_lo, s20, v13
	s_delay_alu instid0(VALU_DEP_3) | instskip(SKIP_1) | instid1(VALU_DEP_4)
	v_cmp_eq_u32_e64 s2, s21, v8
	v_cndmask_b32_e64 v13, 0, -1, vcc_lo
	v_cmp_le_u32_e32 vcc_lo, s21, v10
	v_cndmask_b32_e64 v14, 0, -1, vcc_lo
	v_cmp_le_u32_e32 vcc_lo, s20, v7
	;; [unrolled: 2-line block ×3, first 2 shown]
	v_cndmask_b32_e64 v15, 0, -1, vcc_lo
	v_cmp_eq_u32_e32 vcc_lo, s21, v10
	s_delay_alu instid0(VALU_DEP_2) | instskip(SKIP_3) | instid1(VALU_DEP_3)
	v_cndmask_b32_e64 v7, v15, v7, s2
	v_cndmask_b32_e32 v10, v14, v13, vcc_lo
	v_add_co_u32 v13, vcc_lo, v2, 1
	v_add_co_ci_u32_e32 v14, vcc_lo, 0, v9, vcc_lo
	v_cmp_ne_u32_e32 vcc_lo, 0, v10
	s_delay_alu instid0(VALU_DEP_2) | instskip(NEXT) | instid1(VALU_DEP_4)
	v_cndmask_b32_e32 v8, v14, v12, vcc_lo
	v_cndmask_b32_e32 v10, v13, v11, vcc_lo
	v_cmp_ne_u32_e32 vcc_lo, 0, v7
	s_delay_alu instid0(VALU_DEP_2)
	v_dual_cndmask_b32 v7, v2, v10 :: v_dual_cndmask_b32 v8, v9, v8
.LBB0_4:                                ;   in Loop: Header=BB0_2 Depth=1
	s_and_not1_saveexec_b32 s2, s3
	s_cbranch_execz .LBB0_6
; %bb.5:                                ;   in Loop: Header=BB0_2 Depth=1
	v_cvt_f32_u32_e32 v2, s20
	s_sub_i32 s3, 0, s20
	s_delay_alu instid0(VALU_DEP_1) | instskip(SKIP_2) | instid1(VALU_DEP_1)
	v_rcp_iflag_f32_e32 v2, v2
	s_waitcnt_depctr 0xfff
	v_mul_f32_e32 v2, 0x4f7ffffe, v2
	v_cvt_u32_f32_e32 v2, v2
	s_delay_alu instid0(VALU_DEP_1) | instskip(NEXT) | instid1(VALU_DEP_1)
	v_mul_lo_u32 v7, s3, v2
	v_mul_hi_u32 v7, v2, v7
	s_delay_alu instid0(VALU_DEP_1) | instskip(NEXT) | instid1(VALU_DEP_1)
	v_add_nc_u32_e32 v2, v2, v7
	v_mul_hi_u32 v2, v5, v2
	s_delay_alu instid0(VALU_DEP_1) | instskip(SKIP_1) | instid1(VALU_DEP_2)
	v_mul_lo_u32 v7, v2, s20
	v_add_nc_u32_e32 v8, 1, v2
	v_sub_nc_u32_e32 v7, v5, v7
	s_delay_alu instid0(VALU_DEP_1) | instskip(SKIP_1) | instid1(VALU_DEP_2)
	v_subrev_nc_u32_e32 v9, s20, v7
	v_cmp_le_u32_e32 vcc_lo, s20, v7
	v_dual_cndmask_b32 v7, v7, v9 :: v_dual_cndmask_b32 v2, v2, v8
	s_delay_alu instid0(VALU_DEP_1) | instskip(NEXT) | instid1(VALU_DEP_2)
	v_cmp_le_u32_e32 vcc_lo, s20, v7
	v_add_nc_u32_e32 v8, 1, v2
	s_delay_alu instid0(VALU_DEP_1)
	v_dual_cndmask_b32 v7, v2, v8 :: v_dual_mov_b32 v8, v1
.LBB0_6:                                ;   in Loop: Header=BB0_2 Depth=1
	s_or_b32 exec_lo, exec_lo, s2
	s_load_b64 s[2:3], s[14:15], 0x0
	s_delay_alu instid0(VALU_DEP_1) | instskip(NEXT) | instid1(VALU_DEP_2)
	v_mul_lo_u32 v2, v8, s20
	v_mul_lo_u32 v11, v7, s21
	v_mad_u64_u32 v[9:10], null, v7, s20, 0
	s_add_u32 s18, s18, 1
	s_addc_u32 s19, s19, 0
	s_add_u32 s14, s14, 8
	s_addc_u32 s15, s15, 0
	;; [unrolled: 2-line block ×3, first 2 shown]
	s_delay_alu instid0(VALU_DEP_1) | instskip(SKIP_1) | instid1(VALU_DEP_2)
	v_add3_u32 v2, v10, v11, v2
	v_sub_co_u32 v9, vcc_lo, v5, v9
	v_sub_co_ci_u32_e32 v2, vcc_lo, v6, v2, vcc_lo
	s_waitcnt lgkmcnt(0)
	s_delay_alu instid0(VALU_DEP_2) | instskip(NEXT) | instid1(VALU_DEP_2)
	v_mul_lo_u32 v10, s3, v9
	v_mul_lo_u32 v2, s2, v2
	v_mad_u64_u32 v[5:6], null, s2, v9, v[3:4]
	v_cmp_ge_u64_e64 s2, s[18:19], s[6:7]
	s_delay_alu instid0(VALU_DEP_1) | instskip(NEXT) | instid1(VALU_DEP_2)
	s_and_b32 vcc_lo, exec_lo, s2
	v_add3_u32 v4, v10, v6, v2
	s_delay_alu instid0(VALU_DEP_3)
	v_mov_b32_e32 v3, v5
	s_cbranch_vccnz .LBB0_9
; %bb.7:                                ;   in Loop: Header=BB0_2 Depth=1
	v_dual_mov_b32 v5, v7 :: v_dual_mov_b32 v6, v8
	s_branch .LBB0_2
.LBB0_8:
	v_dual_mov_b32 v8, v6 :: v_dual_mov_b32 v7, v5
.LBB0_9:
	s_lshl_b64 s[2:3], s[6:7], 3
	v_mul_hi_u32 v1, 0x4ec4ec5, v0
	s_add_u32 s2, s12, s2
	s_addc_u32 s3, s13, s3
                                        ; implicit-def: $vgpr20
                                        ; implicit-def: $vgpr14
                                        ; implicit-def: $vgpr17
	s_load_b64 s[2:3], s[2:3], 0x0
	s_load_b64 s[0:1], s[0:1], 0x20
	s_delay_alu instid0(VALU_DEP_1) | instskip(NEXT) | instid1(VALU_DEP_1)
	v_mul_u32_u24_e32 v5, 52, v1
	v_sub_nc_u32_e32 v16, v0, v5
	s_delay_alu instid0(VALU_DEP_1)
	v_add_nc_u32_e32 v18, 52, v16
	v_add_nc_u32_e32 v19, 0x68, v16
	s_waitcnt lgkmcnt(0)
	v_mul_lo_u32 v6, s2, v8
	v_mul_lo_u32 v9, s3, v7
	v_mad_u64_u32 v[1:2], null, s2, v7, v[3:4]
	v_cmp_gt_u64_e32 vcc_lo, s[0:1], v[7:8]
	v_cmp_le_u64_e64 s0, s[0:1], v[7:8]
                                        ; implicit-def: $sgpr2
	s_delay_alu instid0(VALU_DEP_3) | instskip(NEXT) | instid1(VALU_DEP_2)
	v_add3_u32 v2, v9, v2, v6
	s_and_saveexec_b32 s1, s0
	s_delay_alu instid0(SALU_CYCLE_1)
	s_xor_b32 s0, exec_lo, s1
; %bb.10:
	v_add_nc_u32_e32 v20, 52, v16
	v_add_nc_u32_e32 v14, 0x68, v16
	;; [unrolled: 1-line block ×3, first 2 shown]
	s_mov_b32 s2, 0
; %bb.11:
	s_or_saveexec_b32 s1, s0
	v_lshlrev_b64 v[0:1], 2, v[1:2]
	v_mov_b32_e32 v2, s2
                                        ; implicit-def: $vgpr9
                                        ; implicit-def: $vgpr8
                                        ; implicit-def: $vgpr10
                                        ; implicit-def: $vgpr7
                                        ; implicit-def: $vgpr11
                                        ; implicit-def: $vgpr6
                                        ; implicit-def: $vgpr12
                                        ; implicit-def: $vgpr5
                                        ; implicit-def: $vgpr13
                                        ; implicit-def: $vgpr4
                                        ; implicit-def: $vgpr15
                                        ; implicit-def: $vgpr3
	s_xor_b32 exec_lo, exec_lo, s1
	s_cbranch_execz .LBB0_13
; %bb.12:
	v_mad_u64_u32 v[2:3], null, s8, v16, 0
	v_mad_u64_u32 v[4:5], null, s8, v18, 0
	;; [unrolled: 1-line block ×3, first 2 shown]
	v_add_nc_u32_e32 v17, 0x9c, v16
	v_add_co_u32 v37, s0, s10, v0
	v_add_nc_u32_e32 v22, 0x104, v16
	v_mad_u64_u32 v[8:9], null, s9, v16, v[3:4]
	s_delay_alu instid0(VALU_DEP_4) | instskip(SKIP_3) | instid1(VALU_DEP_3)
	v_mad_u64_u32 v[9:10], null, s8, v17, 0
	v_mov_b32_e32 v3, v7
	v_mad_u64_u32 v[11:12], null, s9, v18, v[5:6]
	v_add_co_ci_u32_e64 v38, s0, s11, v1, s0
	v_mad_u64_u32 v[12:13], null, s9, v19, v[3:4]
	v_dual_mov_b32 v3, v8 :: v_dual_mov_b32 v8, v10
	s_delay_alu instid0(VALU_DEP_4) | instskip(SKIP_2) | instid1(VALU_DEP_4)
	v_dual_mov_b32 v5, v11 :: v_dual_add_nc_u32 v26, 0x138, v16
	v_add_nc_u32_e32 v30, 0x1a0, v16
	v_add_nc_u32_e32 v33, 0x1d4, v16
	v_mad_u64_u32 v[13:14], null, s9, v17, v[8:9]
	v_mov_b32_e32 v7, v12
	v_add_nc_u32_e32 v39, 0x270, v16
	s_delay_alu instid0(VALU_DEP_2) | instskip(NEXT) | instid1(VALU_DEP_4)
	v_lshlrev_b64 v[6:7], 2, v[6:7]
	v_mov_b32_e32 v10, v13
	v_mad_u64_u32 v[13:14], null, s8, v22, 0
	v_add_nc_u32_e32 v15, 0xd0, v16
	v_lshlrev_b64 v[2:3], 2, v[2:3]
	s_delay_alu instid0(VALU_DEP_2) | instskip(NEXT) | instid1(VALU_DEP_2)
	v_mad_u64_u32 v[11:12], null, s8, v15, 0
	v_add_co_u32 v2, s0, v37, v2
	s_delay_alu instid0(VALU_DEP_1) | instskip(NEXT) | instid1(VALU_DEP_3)
	v_add_co_ci_u32_e64 v3, s0, v38, v3, s0
	v_mov_b32_e32 v8, v12
	v_lshlrev_b64 v[4:5], 2, v[4:5]
	s_delay_alu instid0(VALU_DEP_2) | instskip(SKIP_2) | instid1(VALU_DEP_4)
	v_mad_u64_u32 v[20:21], null, s9, v15, v[8:9]
	v_lshlrev_b64 v[8:9], 2, v[9:10]
	v_mov_b32_e32 v10, v14
	v_add_co_u32 v4, s0, v37, v4
	s_delay_alu instid0(VALU_DEP_1) | instskip(SKIP_4) | instid1(VALU_DEP_4)
	v_add_co_ci_u32_e64 v5, s0, v38, v5, s0
	v_mov_b32_e32 v12, v20
	v_mad_u64_u32 v[20:21], null, s8, v26, 0
	v_mad_u64_u32 v[14:15], null, s9, v22, v[10:11]
	v_add_nc_u32_e32 v15, 0x16c, v16
	v_lshlrev_b64 v[10:11], 2, v[11:12]
	v_add_co_u32 v6, s0, v37, v6
	v_mov_b32_e32 v12, v21
	s_delay_alu instid0(VALU_DEP_4) | instskip(SKIP_1) | instid1(VALU_DEP_3)
	v_mad_u64_u32 v[22:23], null, s8, v15, 0
	v_add_co_ci_u32_e64 v7, s0, v38, v7, s0
	v_mad_u64_u32 v[24:25], null, s9, v26, v[12:13]
	v_lshlrev_b64 v[13:14], 2, v[13:14]
	v_add_co_u32 v8, s0, v37, v8
	v_mov_b32_e32 v12, v23
	v_add_co_ci_u32_e64 v9, s0, v38, v9, s0
	v_mov_b32_e32 v21, v24
	v_add_co_u32 v10, s0, v37, v10
	s_delay_alu instid0(VALU_DEP_4)
	v_mad_u64_u32 v[23:24], null, s9, v15, v[12:13]
	v_mad_u64_u32 v[24:25], null, s8, v30, 0
	v_add_co_ci_u32_e64 v11, s0, v38, v11, s0
	v_add_co_u32 v26, s0, v37, v13
	v_lshlrev_b64 v[12:13], 2, v[20:21]
	v_mad_u64_u32 v[20:21], null, s8, v33, 0
	v_add_co_ci_u32_e64 v27, s0, v38, v14, s0
	v_mov_b32_e32 v14, v25
	s_delay_alu instid0(VALU_DEP_1)
	v_mad_u64_u32 v[28:29], null, s9, v30, v[14:15]
	v_add_co_u32 v29, s0, v37, v12
	v_mov_b32_e32 v12, v21
	v_lshlrev_b64 v[21:22], 2, v[22:23]
	v_add_co_ci_u32_e64 v30, s0, v38, v13, s0
	v_mov_b32_e32 v25, v28
	s_delay_alu instid0(VALU_DEP_4) | instskip(SKIP_2) | instid1(VALU_DEP_4)
	v_mad_u64_u32 v[31:32], null, s9, v33, v[12:13]
	v_add_nc_u32_e32 v36, 0x208, v16
	v_add_nc_u32_e32 v28, 0x23c, v16
	v_lshlrev_b64 v[23:24], 2, v[24:25]
	s_delay_alu instid0(VALU_DEP_3) | instskip(NEXT) | instid1(VALU_DEP_3)
	v_mad_u64_u32 v[14:15], null, s8, v36, 0
	v_mad_u64_u32 v[32:33], null, s8, v28, 0
	s_delay_alu instid0(VALU_DEP_2) | instskip(NEXT) | instid1(VALU_DEP_1)
	v_mov_b32_e32 v12, v15
	v_mad_u64_u32 v[34:35], null, s9, v36, v[12:13]
	v_add_co_u32 v35, s0, v37, v21
	v_mad_u64_u32 v[12:13], null, s8, v39, 0
	v_add_co_ci_u32_e64 v36, s0, v38, v22, s0
	s_delay_alu instid0(VALU_DEP_4) | instskip(SKIP_1) | instid1(VALU_DEP_2)
	v_dual_mov_b32 v22, v33 :: v_dual_mov_b32 v15, v34
	v_mov_b32_e32 v21, v31
	v_mad_u64_u32 v[33:34], null, s9, v28, v[22:23]
	v_add_co_u32 v22, s0, v37, v23
	s_delay_alu instid0(VALU_DEP_1) | instskip(SKIP_4) | instid1(VALU_DEP_4)
	v_add_co_ci_u32_e64 v23, s0, v38, v24, s0
	v_mad_u64_u32 v[24:25], null, s9, v39, v[13:14]
	v_lshlrev_b64 v[20:21], 2, v[20:21]
	v_lshlrev_b64 v[14:15], 2, v[14:15]
	;; [unrolled: 1-line block ×3, first 2 shown]
	v_mov_b32_e32 v13, v24
	s_delay_alu instid0(VALU_DEP_4) | instskip(NEXT) | instid1(VALU_DEP_1)
	v_add_co_u32 v20, s0, v37, v20
	v_add_co_ci_u32_e64 v21, s0, v38, v21, s0
	v_add_co_u32 v24, s0, v37, v14
	s_delay_alu instid0(VALU_DEP_4) | instskip(SKIP_2) | instid1(VALU_DEP_1)
	v_lshlrev_b64 v[12:13], 2, v[12:13]
	v_add_co_ci_u32_e64 v25, s0, v38, v15, s0
	v_add_co_u32 v31, s0, v37, v31
	v_add_co_ci_u32_e64 v32, s0, v38, v32, s0
	s_delay_alu instid0(VALU_DEP_4) | instskip(NEXT) | instid1(VALU_DEP_1)
	v_add_co_u32 v33, s0, v37, v12
	v_add_co_ci_u32_e64 v34, s0, v38, v13, s0
	s_clause 0xc
	global_load_b32 v2, v[2:3], off
	global_load_b32 v15, v[4:5], off
	;; [unrolled: 1-line block ×13, first 2 shown]
	v_mov_b32_e32 v14, v19
	v_mov_b32_e32 v20, v18
.LBB0_13:
	s_or_b32 exec_lo, exec_lo, s1
	s_waitcnt vmcnt(0)
	v_pk_add_f16 v21, v15, v3 neg_lo:[0,1] neg_hi:[0,1]
	v_pk_add_f16 v22, v15, v3
	v_pk_add_f16 v15, v15, v2
	;; [unrolled: 1-line block ×3, first 2 shown]
	v_pk_add_f16 v37, v13, v4 neg_lo:[0,1] neg_hi:[0,1]
	v_pk_add_f16 v48, v12, v5
	v_pk_add_f16 v49, v12, v5 neg_lo:[0,1] neg_hi:[0,1]
	v_pk_add_f16 v13, v13, v15
	v_pk_add_f16 v60, v11, v6
	v_pk_add_f16 v61, v11, v6 neg_lo:[0,1] neg_hi:[0,1]
	v_pk_add_f16 v73, v10, v7
	v_pk_add_f16 v74, v10, v7 neg_lo:[0,1] neg_hi:[0,1]
	v_pk_add_f16 v12, v12, v13
	v_lshrrev_b32_e32 v24, 16, v22
	v_mul_f16_e32 v25, 0xb770, v21
	v_mul_f16_e32 v26, 0xba95, v21
	;; [unrolled: 1-line block ×3, first 2 shown]
	v_pk_add_f16 v11, v11, v12
	v_mul_f16_e32 v28, 0xbb7b, v21
	v_mul_f16_e32 v38, 0xb94e, v21
	v_pk_add_f16 v81, v9, v8
	v_fma_f16 v30, v24, 0x3b15, -v25
	v_pk_add_f16 v10, v10, v11
	v_fmac_f16_e32 v25, 0x3b15, v24
	v_fma_f16 v32, v24, 0x388b, -v26
	v_fmac_f16_e32 v26, 0x388b, v24
	v_fma_f16 v35, v24, 0x2fb7, -v27
	v_pk_add_f16 v10, v9, v10
	v_pk_add_f16 v9, v9, v8 neg_lo:[0,1] neg_hi:[0,1]
	v_fmac_f16_e32 v27, 0x2fb7, v24
	v_fma_f16 v39, v24, 0xb5ac, -v28
	v_fmac_f16_e32 v28, 0xb5ac, v24
	v_pk_add_f16 v8, v8, v10
	v_lshrrev_b32_e32 v40, 16, v36
	v_mul_f16_e32 v41, 0xba95, v37
	v_fma_f16 v42, v24, 0xb9fd, -v38
	v_mul_f16_e32 v43, 0xbb7b, v37
	v_fmac_f16_e32 v38, 0xb9fd, v24
	v_mul_f16_e32 v24, 0xb3a8, v37
	v_mul_f16_e32 v47, 0x394e, v37
	;; [unrolled: 1-line block ×3, first 2 shown]
	v_pk_add_f16 v7, v7, v8
	v_fma_f16 v44, v40, 0x388b, -v41
	v_fmac_f16_e32 v41, 0x388b, v40
	v_fma_f16 v45, v40, 0xb5ac, -v43
	v_fmac_f16_e32 v43, 0xb5ac, v40
	;; [unrolled: 2-line block ×4, first 2 shown]
	v_lshrrev_b32_e32 v52, 16, v48
	v_mul_f16_e32 v53, 0xbbf1, v49
	v_fma_f16 v54, v40, 0x2fb7, -v50
	v_mul_f16_e32 v55, 0xb3a8, v49
	v_fmac_f16_e32 v50, 0x2fb7, v40
	v_mul_f16_e32 v40, 0x3b7b, v49
	v_mul_f16_e32 v59, 0x3770, v49
	;; [unrolled: 1-line block ×3, first 2 shown]
	v_lshrrev_b32_e32 v64, 16, v60
	v_mul_f16_e32 v65, 0xbb7b, v61
	v_mul_f16_e32 v67, 0x394e, v61
	;; [unrolled: 1-line block ×5, first 2 shown]
	v_pk_add_f16 v6, v6, v7
	v_lshrrev_b32_e32 v23, 16, v21
	v_fma_f16 v56, v52, 0x2fb7, -v53
	v_fmac_f16_e32 v53, 0x2fb7, v52
	v_fma_f16 v57, v52, 0xbbc4, -v55
	v_fmac_f16_e32 v55, 0xbbc4, v52
	;; [unrolled: 2-line block ×9, first 2 shown]
	v_lshrrev_b32_e32 v75, 16, v73
	v_mul_f16_e32 v76, 0xb94e, v74
	v_fma_f16 v13, v64, 0xbbc4, -v15
	v_fmac_f16_e32 v15, 0xbbc4, v64
	v_mul_f16_e32 v64, 0x3bf1, v74
	v_mul_f16_e32 v12, 0xba95, v74
	v_mul_f16_e32 v79, 0x33a8, v74
	v_mul_f16_e32 v82, 0x3770, v74
	v_lshrrev_b32_e32 v10, 16, v81
	v_mul_f16_e32 v83, 0xb3a8, v9
	v_mul_f16_e32 v8, 0x3770, v9
	;; [unrolled: 1-line block ×4, first 2 shown]
	v_pk_add_f16 v5, v5, v6
	v_mul_f16_e32 v6, 0xbb7b, v9
	v_mul_f16_e32 v29, 0xb770, v23
	v_fma_f16 v77, v75, 0xb9fd, -v76
	v_fmac_f16_e32 v76, 0xb9fd, v75
	v_fma_f16 v78, v75, 0x2fb7, -v64
	v_fmac_f16_e32 v64, 0x2fb7, v75
	;; [unrolled: 2-line block ×9, first 2 shown]
	v_pk_add_f16 v4, v4, v5
	v_fma_f16 v5, v10, 0xb5ac, -v6
	v_fmac_f16_e32 v6, 0xb5ac, v10
	v_lshrrev_b32_e32 v10, 16, v2
	v_mul_f16_e32 v31, 0xba95, v23
	v_mul_f16_e32 v33, 0xbbf1, v23
	v_fmamk_f16 v34, v22, 0x3b15, v29
	v_pk_mul_f16 v21, 0xb3a8, v21 op_sel_hi:[0,1]
	v_add_f16_e32 v30, v30, v10
	v_add_f16_e32 v25, v25, v10
	;; [unrolled: 1-line block ×10, first 2 shown]
	v_mul_f16_e32 v38, 0xbb7b, v23
	v_mul_f16_e32 v23, 0xb94e, v23
	v_fma_f16 v29, v22, 0x3b15, -v29
	v_pk_add_f16 v4, v3, v4
	v_fmamk_f16 v3, v22, 0x388b, v31
	v_fma_f16 v31, v22, 0x388b, -v31
	v_fmamk_f16 v89, v22, 0x2fb7, v33
	v_fma_f16 v33, v22, 0x2fb7, -v33
	;; [unrolled: 2-line block ×4, first 2 shown]
	v_pk_fma_f16 v92, 0xbbc4, v22, v21 op_sel:[0,0,1] op_sel_hi:[0,1,0]
	v_pk_fma_f16 v21, 0xbbc4, v22, v21 op_sel:[0,0,1] op_sel_hi:[0,1,0] neg_lo:[0,0,1] neg_hi:[0,0,1]
	v_add_f16_e32 v22, v34, v2
	v_lshrrev_b32_e32 v34, 16, v37
	v_add_f16_e32 v29, v29, v2
	v_add_f16_e32 v3, v3, v2
	;; [unrolled: 1-line block ×4, first 2 shown]
	v_mul_f16_e32 v93, 0xba95, v34
	v_mul_f16_e32 v95, 0xbb7b, v34
	v_add_f16_e32 v33, v33, v2
	v_add_f16_e32 v90, v90, v2
	;; [unrolled: 1-line block ×3, first 2 shown]
	v_fmamk_f16 v94, v36, 0x388b, v93
	v_add_f16_e32 v91, v91, v2
	v_add_f16_e32 v23, v23, v2
	v_pk_add_f16 v92, v92, v2
	v_pk_add_f16 v2, v21, v2
	v_add_f16_e32 v21, v94, v22
	v_add_f16_e32 v22, v44, v30
	v_fmamk_f16 v30, v36, 0xb5ac, v95
	v_mul_f16_e32 v44, 0xb3a8, v34
	v_add_f16_e32 v25, v41, v25
	v_fma_f16 v93, v36, 0x388b, -v93
	v_add_f16_e32 v26, v43, v26
	v_add_f16_e32 v3, v30, v3
	v_add_f16_e32 v30, v45, v32
	v_fmamk_f16 v32, v36, 0xbbc4, v44
	v_fma_f16 v41, v36, 0xbbc4, -v44
	v_mul_f16_e32 v44, 0x394e, v34
	v_mul_f16_e32 v34, 0x3bf1, v34
	v_add_f16_e32 v24, v24, v27
	v_lshrrev_b32_e32 v27, 16, v49
	v_add_f16_e32 v33, v41, v33
	v_fmamk_f16 v41, v36, 0xb9fd, v44
	v_fma_f16 v43, v36, 0xb9fd, -v44
	v_fmamk_f16 v44, v36, 0x2fb7, v34
	v_fma_f16 v34, v36, 0x2fb7, -v34
	v_pk_mul_f16 v37, 0x3770, v37 op_sel_hi:[0,1]
	v_add_f16_e32 v29, v93, v29
	v_fma_f16 v93, v36, 0xb5ac, -v95
	v_mul_f16_e32 v45, 0xbbf1, v27
	v_add_f16_e32 v38, v43, v38
	v_mul_f16_e32 v43, 0xb3a8, v27
	v_add_f16_e32 v23, v34, v23
	v_pk_fma_f16 v34, 0x3b15, v36, v37 op_sel:[0,0,1] op_sel_hi:[0,1,0]
	v_pk_fma_f16 v36, 0x3b15, v36, v37 op_sel:[0,0,1] op_sel_hi:[0,1,0] neg_lo:[0,0,1] neg_hi:[0,0,1]
	v_add_f16_e32 v31, v93, v31
	v_add_f16_e32 v35, v46, v35
	;; [unrolled: 1-line block ×4, first 2 shown]
	v_fmamk_f16 v46, v48, 0x2fb7, v45
	v_fmamk_f16 v47, v48, 0xbbc4, v43
	v_mul_f16_e32 v51, 0x3b7b, v27
	v_fma_f16 v43, v48, 0xbbc4, -v43
	v_add_f16_e32 v10, v50, v10
	v_mul_f16_e32 v50, 0x3770, v27
	v_mul_f16_e32 v27, 0xba95, v27
	v_pk_add_f16 v2, v36, v2
	v_lshrrev_b32_e32 v36, 16, v61
	v_add_f16_e32 v32, v32, v89
	v_add_f16_e32 v41, v41, v90
	v_fma_f16 v45, v48, 0x2fb7, -v45
	v_add_f16_e32 v44, v44, v91
	v_add_f16_e32 v42, v54, v42
	v_fmamk_f16 v37, v48, 0xb5ac, v51
	v_fmamk_f16 v54, v48, 0x3b15, v50
	v_add_f16_e32 v21, v46, v21
	v_fmamk_f16 v46, v48, 0x388b, v27
	v_add_f16_e32 v31, v43, v31
	v_mul_f16_e32 v43, 0xbbf1, v36
	v_add_f16_e32 v35, v58, v35
	v_lshrrev_b32_e32 v58, 16, v74
	v_fma_f16 v51, v48, 0xb5ac, -v51
	v_fma_f16 v50, v48, 0x3b15, -v50
	v_add_f16_e32 v22, v56, v22
	v_mul_f16_e32 v56, 0xbb7b, v36
	v_fma_f16 v27, v48, 0x388b, -v27
	v_add_f16_e32 v29, v45, v29
	v_mul_f16_e32 v45, 0x394e, v36
	v_add_f16_e32 v30, v57, v30
	v_mul_f16_e32 v57, 0x3770, v36
	v_add_f16_e32 v32, v37, v32
	v_fmamk_f16 v37, v60, 0x2fb7, v43
	v_mul_f16_e32 v36, 0x33a8, v36
	v_add_f16_e32 v24, v40, v24
	v_add_f16_e32 v41, v54, v41
	v_add_f16_e32 v44, v46, v44
	v_mul_f16_e32 v46, 0x33a8, v58
	v_pk_mul_f16 v49, 0xb94e, v49 op_sel_hi:[0,1]
	v_fma_f16 v43, v60, 0x2fb7, -v43
	v_add_f16_e32 v33, v51, v33
	v_fmamk_f16 v51, v60, 0xbbc4, v36
	v_add_f16_e32 v38, v50, v38
	v_add_f16_e32 v23, v27, v23
	v_fmamk_f16 v27, v73, 0xbbc4, v46
	v_add_f16_e32 v10, v62, v10
	v_pk_fma_f16 v62, 0xb9fd, v48, v49 op_sel:[0,0,1] op_sel_hi:[0,1,0]
	v_pk_fma_f16 v48, 0xb9fd, v48, v49 op_sel:[0,0,1] op_sel_hi:[0,1,0] neg_lo:[0,0,1] neg_hi:[0,0,1]
	v_add_f16_e32 v24, v68, v24
	v_add_f16_e32 v37, v37, v41
	v_pk_mul_f16 v41, 0x3a95, v61 op_sel_hi:[0,1]
	v_fma_f16 v36, v60, 0xbbc4, -v36
	v_fma_f16 v46, v73, 0xbbc4, -v46
	v_pk_add_f16 v2, v48, v2
	v_add_f16_e32 v38, v43, v38
	v_add_f16_e32 v43, v51, v44
	v_pk_fma_f16 v44, 0x388b, v60, v41 op_sel:[0,0,1] op_sel_hi:[0,1,0]
	v_pk_fma_f16 v41, 0x388b, v60, v41 op_sel:[0,0,1] op_sel_hi:[0,1,0] neg_lo:[0,0,1] neg_hi:[0,0,1]
	v_add_f16_e32 v12, v12, v24
	v_add_f16_e32 v24, v27, v37
	v_pk_mul_f16 v27, 0xbb7b, v74 op_sel_hi:[0,1]
	v_pk_add_f16 v34, v34, v92
	v_add_f16_e32 v42, v66, v42
	v_add_f16_e32 v23, v36, v23
	v_pk_add_f16 v2, v41, v2
	v_add_f16_e32 v36, v46, v38
	v_pk_fma_f16 v38, 0xb5ac, v73, v27 op_sel:[0,0,1] op_sel_hi:[0,1,0]
	v_pk_fma_f16 v27, 0xb5ac, v73, v27 op_sel:[0,0,1] op_sel_hi:[0,1,0] neg_lo:[0,0,1] neg_hi:[0,0,1]
	v_add_f16_e32 v25, v53, v25
	v_fmamk_f16 v53, v60, 0xb5ac, v56
	v_add_f16_e32 v3, v47, v3
	v_fmamk_f16 v47, v60, 0xb9fd, v45
	;; [unrolled: 2-line block ×3, first 2 shown]
	v_mul_f16_e32 v40, 0xb94e, v58
	v_mul_f16_e32 v54, 0x3bf1, v58
	v_add_f16_e32 v39, v63, v39
	v_add_f16_e32 v28, v59, v28
	v_mul_f16_e32 v59, 0xba95, v58
	v_mul_f16_e32 v58, 0x3770, v58
	v_lshrrev_b32_e32 v49, 16, v9
	v_pk_add_f16 v34, v62, v34
	v_add_f16_e32 v13, v13, v42
	v_pk_add_f16 v27, v27, v2
	v_and_b32_e32 v2, 0xff, v16
	v_fmamk_f16 v66, v73, 0x388b, v59
	v_fmamk_f16 v62, v73, 0x3b15, v58
	v_mul_f16_e32 v48, 0xb3a8, v49
	v_add_f16_e32 v21, v53, v21
	v_mul_f16_e32 v53, 0x3770, v49
	v_add_f16_e32 v25, v65, v25
	;; [unrolled: 2-line block ×3, first 2 shown]
	v_mul_f16_e32 v3, 0x3a95, v49
	v_mul_f16_e32 v49, 0xbb7b, v49
	v_add_f16_e32 v26, v67, v26
	v_add_f16_e32 v32, v55, v32
	;; [unrolled: 1-line block ×5, first 2 shown]
	v_pk_add_f16 v15, v44, v34
	v_add_f16_e32 v13, v84, v13
	v_pk_mul_f16 v9, 0x3bf1, v9 op_sel_hi:[0,1]
	v_mul_lo_u16 v2, 0x4f, v2
	v_add_f16_e32 v30, v69, v30
	v_fmamk_f16 v69, v81, 0xb9fd, v65
	v_fmamk_f16 v67, v81, 0xb5ac, v49
	v_add_f16_e32 v26, v64, v26
	v_add_f16_e32 v32, v66, v32
	;; [unrolled: 1-line block ×6, first 2 shown]
	v_pk_add_f16 v15, v38, v15
	v_add_f16_e32 v5, v5, v13
	v_pk_fma_f16 v13, 0x2fb7, v81, v9 op_sel:[0,0,1] op_sel_hi:[0,1,0]
	v_lshrrev_b16 v2, 10, v2
	v_fma_f16 v45, v60, 0xb9fd, -v45
	v_fma_f16 v57, v60, 0x3b15, -v57
	;; [unrolled: 1-line block ×3, first 2 shown]
	v_fmamk_f16 v63, v73, 0xb9fd, v40
	v_fmamk_f16 v50, v73, 0x2fb7, v54
	v_add_f16_e32 v22, v52, v22
	v_add_f16_e32 v8, v8, v26
	;; [unrolled: 1-line block ×6, first 2 shown]
	v_pk_add_f16 v10, v13, v15
	v_mul_lo_u16 v13, v2, 13
	v_fma_f16 v54, v73, 0x2fb7, -v54
	v_fma_f16 v59, v73, 0x388b, -v59
	;; [unrolled: 1-line block ×3, first 2 shown]
	v_add_f16_e32 v31, v45, v31
	v_add_f16_e32 v33, v57, v33
	;; [unrolled: 1-line block ×3, first 2 shown]
	v_fmamk_f16 v52, v81, 0xbbc4, v48
	v_add_f16_e32 v29, v56, v29
	v_fmamk_f16 v56, v81, 0x3b15, v53
	v_fmamk_f16 v45, v81, 0x388b, v3
	v_fma_f16 v89, v81, 0x388b, -v3
	v_mad_u32_u24 v3, v16, 52, 0
	v_add_f16_e32 v21, v63, v21
	v_add_f16_e32 v22, v77, v22
	v_add_f16_e32 v34, v50, v47
	v_add_f16_e32 v30, v78, v30
	v_pack_b32_f16 v5, v35, v5
	v_sub_nc_u16 v13, v16, v13
	v_fma_f16 v40, v73, 0xb9fd, -v40
	v_pk_fma_f16 v9, 0x2fb7, v81, v9 op_sel:[0,0,1] op_sel_hi:[0,1,0] neg_lo:[0,0,1] neg_hi:[0,0,1]
	v_fma_f16 v53, v81, 0x3b15, -v53
	v_fma_f16 v65, v81, 0xb9fd, -v65
	;; [unrolled: 1-line block ×3, first 2 shown]
	v_add_f16_e32 v31, v54, v31
	v_add_f16_e32 v33, v59, v33
	;; [unrolled: 1-line block ×8, first 2 shown]
	ds_store_2addr_b32 v3, v4, v5 offset1:5
	v_and_b32_e32 v4, 0xff, v13
	v_fma_f16 v48, v81, 0xbbc4, -v48
	v_add_f16_e32 v29, v40, v29
	v_add_f16_e32 v25, v76, v25
	;; [unrolled: 1-line block ×4, first 2 shown]
	v_pk_add_f16 v9, v9, v27
	v_add_f16_e32 v30, v53, v31
	v_add_f16_e32 v31, v65, v33
	;; [unrolled: 1-line block ×6, first 2 shown]
	v_pack_b32_f16 v7, v34, v7
	v_pack_b32_f16 v15, v21, v22
	v_mul_u32_u24_e32 v22, 12, v4
	v_add_f16_e32 v29, v48, v29
	v_add_f16_e32 v25, v83, v25
	v_pack_b32_f16 v21, v24, v32
	v_pack_b32_f16 v11, v26, v11
	v_bfi_b32 v5, 0xffff, v9, v10
	v_bfi_b32 v9, 0xffff, v10, v9
	v_pack_b32_f16 v10, v33, v28
	v_pack_b32_f16 v6, v23, v6
	;; [unrolled: 1-line block ×4, first 2 shown]
	ds_store_2addr_b32 v3, v15, v7 offset0:1 offset1:2
	ds_store_2addr_b32 v3, v11, v21 offset0:3 offset1:4
	;; [unrolled: 1-line block ×4, first 2 shown]
	v_lshlrev_b32_e32 v5, 2, v22
	v_pack_b32_f16 v13, v29, v25
	ds_store_2addr_b32 v3, v12, v8 offset0:10 offset1:11
	ds_store_b32 v3, v13 offset:48
	s_waitcnt lgkmcnt(0)
	s_barrier
	buffer_gl0_inv
	s_clause 0x2
	global_load_b128 v[8:11], v5, s[4:5]
	global_load_b128 v[24:27], v5, s[4:5] offset:16
	global_load_b128 v[28:31], v5, s[4:5] offset:32
	v_mad_i32_i24 v6, 0xffffffd0, v16, v3
	v_lshl_add_u32 v21, v20, 2, 0
	v_lshl_add_u32 v22, v14, 2, 0
	v_and_b32_e32 v2, 0xffff, v2
	v_lshlrev_b32_e32 v4, 2, v4
	v_add_nc_u32_e32 v5, 0x400, v6
	v_add_nc_u32_e32 v15, 0x600, v6
	;; [unrolled: 1-line block ×3, first 2 shown]
	v_mul_u32_u24_e32 v2, 0x2a4, v2
	v_cmp_gt_u32_e64 s0, 13, v16
	ds_load_2addr_b32 v[12:13], v5 offset0:4 offset1:56
	ds_load_2addr_b32 v[32:33], v5 offset0:108 offset1:160
	ds_load_2addr_b32 v[34:35], v15 offset0:84 offset1:136
	ds_load_b32 v23, v21
	ds_load_2addr_b32 v[36:37], v7 offset0:60 offset1:112
	ds_load_b32 v40, v22
	v_lshl_add_u32 v15, v17, 2, 0
	ds_load_2addr_b32 v[38:39], v6 offset1:208
	ds_load_b32 v41, v15
	v_add3_u32 v2, 0, v2, v4
	s_waitcnt vmcnt(0) lgkmcnt(0)
	s_barrier
	buffer_gl0_inv
	v_lshrrev_b32_e32 v42, 16, v12
	v_lshrrev_b32_e32 v43, 16, v13
	;; [unrolled: 1-line block ×14, first 2 shown]
	s_delay_alu instid0(VALU_DEP_4) | instskip(SKIP_2) | instid1(VALU_DEP_3)
	v_mul_f16_e32 v53, v47, v48
	v_mul_f16_e32 v47, v47, v23
	;; [unrolled: 1-line block ×3, first 2 shown]
	v_fmac_f16_e32 v53, v8, v23
	v_mul_f16_e32 v23, v52, v40
	v_lshrrev_b32_e32 v52, 16, v41
	v_fma_f16 v8, v8, v48, -v47
	v_lshrrev_b32_e32 v47, 16, v39
	v_fmac_f16_e32 v57, v9, v40
	v_fma_f16 v40, v9, v54, -v23
	v_mul_f16_e32 v48, v55, v52
	v_mul_f16_e32 v9, v55, v41
	;; [unrolled: 1-line block ×4, first 2 shown]
	v_lshrrev_b32_e32 v55, 16, v24
	v_fmac_f16_e32 v48, v10, v41
	v_fma_f16 v41, v10, v52, -v9
	v_fmac_f16_e32 v54, v11, v39
	v_fma_f16 v39, v11, v47, -v23
	v_mul_f16_e32 v23, v42, v55
	v_lshrrev_b32_e32 v9, 16, v25
	v_mul_f16_e32 v55, v12, v55
	v_lshrrev_b32_e32 v47, 16, v26
	v_lshrrev_b32_e32 v52, 16, v27
	v_fmac_f16_e32 v23, v12, v24
	v_mul_f16_e32 v10, v43, v9
	v_mul_f16_e32 v9, v13, v9
	v_fma_f16 v24, v42, v24, -v55
	v_lshrrev_b32_e32 v42, 16, v38
	v_mul_f16_e32 v11, v44, v47
	v_fmac_f16_e32 v10, v13, v25
	v_fma_f16 v12, v43, v25, -v9
	v_add_f16_e32 v9, v53, v38
	v_add_f16_e32 v13, v8, v42
	v_fmac_f16_e32 v11, v32, v26
	v_mul_f16_e32 v32, v32, v47
	v_mul_f16_e32 v25, v45, v52
	;; [unrolled: 1-line block ×3, first 2 shown]
	v_add_f16_e32 v9, v9, v57
	v_add_f16_e32 v47, v13, v40
	v_fma_f16 v13, v44, v26, -v32
	v_fmac_f16_e32 v25, v33, v27
	v_fma_f16 v26, v45, v27, -v43
	v_add_f16_e32 v9, v9, v48
	v_add_f16_e32 v27, v47, v41
	v_lshrrev_b32_e32 v32, 16, v28
	v_lshrrev_b32_e32 v33, 16, v29
	;; [unrolled: 1-line block ×3, first 2 shown]
	v_add_f16_e32 v9, v9, v54
	v_add_f16_e32 v27, v27, v39
	v_mul_f16_e32 v44, v46, v32
	v_mul_f16_e32 v32, v34, v32
	v_lshrrev_b32_e32 v45, 16, v31
	v_add_f16_e32 v9, v9, v23
	v_add_f16_e32 v27, v27, v24
	v_fmac_f16_e32 v44, v34, v28
	v_mul_f16_e32 v34, v49, v33
	v_fma_f16 v28, v46, v28, -v32
	v_add_f16_e32 v9, v9, v10
	v_add_f16_e32 v27, v27, v12
	v_mul_f16_e32 v32, v35, v33
	v_fmac_f16_e32 v34, v35, v29
	v_mul_f16_e32 v33, v50, v43
	v_add_f16_e32 v9, v9, v11
	v_add_f16_e32 v27, v27, v13
	v_fma_f16 v29, v49, v29, -v32
	v_mul_f16_e32 v32, v37, v45
	v_fmac_f16_e32 v33, v36, v30
	v_add_f16_e32 v9, v9, v25
	v_add_f16_e32 v27, v27, v26
	v_mul_f16_e32 v35, v51, v45
	v_fma_f16 v32, v51, v31, -v32
	v_mul_f16_e32 v36, v36, v43
	v_add_f16_e32 v9, v9, v44
	v_add_f16_e32 v27, v27, v28
	v_fmac_f16_e32 v35, v37, v31
	v_sub_f16_e32 v31, v8, v32
	v_fma_f16 v30, v50, v30, -v36
	v_add_f16_e32 v9, v9, v34
	v_add_f16_e32 v27, v27, v29
	;; [unrolled: 1-line block ×3, first 2 shown]
	v_mul_f16_e32 v37, 0xb770, v31
	v_add_f16_e32 v43, v8, v32
	v_add_f16_e32 v8, v9, v33
	;; [unrolled: 1-line block ×3, first 2 shown]
	v_sub_f16_e32 v66, v40, v30
	v_fmamk_f16 v27, v36, 0x3b15, v37
	v_mul_f16_e32 v51, 0xbbf1, v31
	v_mul_f16_e32 v55, 0xbb7b, v31
	v_add_f16_e32 v9, v9, v32
	v_mul_f16_e32 v32, 0xba95, v31
	v_mul_f16_e32 v60, 0xb94e, v31
	v_mul_f16_e32 v31, 0xb3a8, v31
	v_add_f16_e32 v68, v57, v33
	v_mul_f16_e32 v69, 0xba95, v66
	v_sub_f16_e32 v45, v53, v35
	v_mul_f16_e32 v46, 0x3b15, v43
	v_add_f16_e32 v27, v27, v38
	v_fma_f16 v37, v36, 0x3b15, -v37
	v_mul_f16_e32 v47, 0x388b, v43
	v_fmamk_f16 v49, v36, 0x388b, v32
	v_fma_f16 v32, v36, 0x388b, -v32
	v_mul_f16_e32 v52, 0x2fb7, v43
	v_fmamk_f16 v53, v36, 0x2fb7, v51
	v_fma_f16 v51, v36, 0x2fb7, -v51
	v_fmamk_f16 v58, v36, 0xb5ac, v55
	v_mul_f16_e32 v59, 0xb5ac, v43
	v_fma_f16 v55, v36, 0xb5ac, -v55
	v_mul_f16_e32 v62, 0xb9fd, v43
	v_fmamk_f16 v63, v36, 0xb9fd, v60
	v_fma_f16 v60, v36, 0xb9fd, -v60
	v_mul_f16_e32 v43, 0xbbc4, v43
	v_fmamk_f16 v65, v36, 0xbbc4, v31
	v_add_f16_e32 v30, v40, v30
	v_fma_f16 v31, v36, 0xbbc4, -v31
	v_fmamk_f16 v36, v68, 0x388b, v69
	v_add_f16_e32 v8, v8, v35
	v_fmamk_f16 v35, v45, 0x3770, v46
	v_fmac_f16_e32 v46, 0xb770, v45
	v_fmamk_f16 v50, v45, 0x3a95, v47
	v_fmac_f16_e32 v47, 0xba95, v45
	v_fmamk_f16 v56, v45, 0x3bf1, v52
	v_fmac_f16_e32 v52, 0xbbf1, v45
	v_fmamk_f16 v61, v45, 0x3b7b, v59
	v_fmac_f16_e32 v59, 0xbb7b, v45
	v_fmamk_f16 v64, v45, 0x394e, v62
	v_fmac_f16_e32 v62, 0xb94e, v45
	v_fmamk_f16 v67, v45, 0x33a8, v43
	v_fmac_f16_e32 v43, 0xb3a8, v45
	v_sub_f16_e32 v33, v57, v33
	v_mul_f16_e32 v40, 0x388b, v30
	v_add_f16_e32 v27, v36, v27
	v_mul_f16_e32 v36, 0xbb7b, v66
	v_add_f16_e32 v35, v35, v42
	v_add_f16_e32 v37, v37, v38
	;; [unrolled: 1-line block ×23, first 2 shown]
	v_fmamk_f16 v42, v33, 0x3a95, v40
	v_fma_f16 v43, v68, 0x388b, -v69
	v_fmac_f16_e32 v40, 0xba95, v33
	v_mul_f16_e32 v45, 0xb5ac, v30
	v_fmamk_f16 v57, v68, 0xb5ac, v36
	v_add_f16_e32 v35, v42, v35
	v_add_f16_e32 v37, v43, v37
	;; [unrolled: 1-line block ×3, first 2 shown]
	v_fmamk_f16 v42, v33, 0x3b7b, v45
	v_add_f16_e32 v43, v57, v49
	v_mul_f16_e32 v46, 0xb3a8, v66
	v_fma_f16 v36, v68, 0xb5ac, -v36
	v_fmac_f16_e32 v45, 0xbb7b, v33
	v_mul_f16_e32 v49, 0xbbc4, v30
	v_add_f16_e32 v42, v42, v50
	v_fmamk_f16 v50, v68, 0xbbc4, v46
	v_add_f16_e32 v32, v36, v32
	v_add_f16_e32 v36, v45, v47
	v_mul_f16_e32 v45, 0x394e, v66
	v_fmamk_f16 v47, v33, 0x33a8, v49
	v_fmac_f16_e32 v49, 0xb3a8, v33
	v_add_f16_e32 v50, v50, v53
	v_fma_f16 v46, v68, 0xbbc4, -v46
	v_fmamk_f16 v53, v68, 0xb9fd, v45
	v_fma_f16 v45, v68, 0xb9fd, -v45
	v_add_f16_e32 v49, v49, v52
	v_mul_f16_e32 v52, 0x3bf1, v66
	v_add_f16_e32 v46, v46, v51
	v_add_f16_e32 v51, v53, v58
	v_mul_f16_e32 v57, 0x2fb7, v30
	v_add_f16_e32 v47, v47, v56
	v_fmamk_f16 v58, v68, 0x2fb7, v52
	v_fma_f16 v52, v68, 0x2fb7, -v52
	v_mul_f16_e32 v56, 0xb9fd, v30
	v_add_f16_e32 v45, v45, v55
	v_fmamk_f16 v55, v33, 0xbbf1, v57
	v_fmac_f16_e32 v57, 0x3bf1, v33
	v_add_f16_e32 v52, v52, v60
	v_sub_f16_e32 v60, v41, v29
	v_fmamk_f16 v53, v33, 0xb94e, v56
	v_fmac_f16_e32 v56, 0x394e, v33
	v_add_f16_e32 v55, v55, v64
	v_mul_f16_e32 v30, 0x3b15, v30
	v_add_f16_e32 v57, v57, v62
	v_add_f16_e32 v62, v48, v34
	v_mul_f16_e32 v64, 0xbbf1, v60
	v_add_f16_e32 v29, v41, v29
	v_add_f16_e32 v56, v56, v59
	;; [unrolled: 1-line block ×3, first 2 shown]
	v_mul_f16_e32 v59, 0x3770, v66
	v_fmamk_f16 v63, v33, 0xb770, v30
	v_fmac_f16_e32 v30, 0x3770, v33
	v_fmamk_f16 v33, v62, 0x2fb7, v64
	v_sub_f16_e32 v34, v48, v34
	v_mul_f16_e32 v48, 0x2fb7, v29
	v_add_f16_e32 v53, v53, v61
	v_fmamk_f16 v61, v68, 0x3b15, v59
	v_fma_f16 v41, v68, 0x3b15, -v59
	v_add_f16_e32 v30, v30, v38
	v_add_f16_e32 v27, v33, v27
	v_mul_f16_e32 v33, 0xb3a8, v60
	v_fmamk_f16 v38, v34, 0x3bf1, v48
	v_fmac_f16_e32 v48, 0xbbf1, v34
	v_mul_f16_e32 v59, 0xbbc4, v29
	v_add_f16_e32 v31, v41, v31
	v_fma_f16 v41, v62, 0x2fb7, -v64
	v_fmamk_f16 v64, v62, 0xbbc4, v33
	v_add_f16_e32 v35, v38, v35
	v_add_f16_e32 v38, v48, v40
	v_fmamk_f16 v40, v34, 0x33a8, v59
	v_add_f16_e32 v37, v41, v37
	v_add_f16_e32 v41, v64, v43
	v_mul_f16_e32 v43, 0x3b7b, v60
	v_fma_f16 v33, v62, 0xbbc4, -v33
	v_fmac_f16_e32 v59, 0xb3a8, v34
	v_add_f16_e32 v40, v40, v42
	v_mul_f16_e32 v42, 0xb5ac, v29
	v_fmamk_f16 v48, v62, 0xb5ac, v43
	v_add_f16_e32 v32, v33, v32
	v_add_f16_e32 v33, v59, v36
	v_mul_f16_e32 v36, 0x3770, v60
	v_fmamk_f16 v59, v34, 0xbb7b, v42
	v_fmac_f16_e32 v42, 0x3b7b, v34
	v_add_f16_e32 v48, v48, v50
	v_fma_f16 v43, v62, 0xb5ac, -v43
	v_fmamk_f16 v50, v62, 0x3b15, v36
	v_add_f16_e32 v47, v59, v47
	v_add_f16_e32 v42, v42, v49
	v_mul_f16_e32 v49, 0xba95, v60
	v_mul_f16_e32 v59, 0x3b15, v29
	v_add_f16_e32 v43, v43, v46
	v_add_f16_e32 v46, v50, v51
	v_fma_f16 v36, v62, 0x3b15, -v36
	v_mul_f16_e32 v51, 0x388b, v29
	v_fmamk_f16 v64, v62, 0x388b, v49
	v_fma_f16 v49, v62, 0x388b, -v49
	v_fmamk_f16 v50, v34, 0xb770, v59
	v_fmac_f16_e32 v59, 0x3770, v34
	v_add_f16_e32 v36, v36, v45
	v_fmamk_f16 v45, v34, 0x3a95, v51
	v_mul_f16_e32 v29, 0xb9fd, v29
	v_fmac_f16_e32 v51, 0xba95, v34
	v_add_f16_e32 v49, v49, v52
	v_sub_f16_e32 v52, v39, v28
	v_add_f16_e32 v50, v50, v53
	v_add_f16_e32 v53, v59, v56
	;; [unrolled: 1-line block ×3, first 2 shown]
	v_mul_f16_e32 v58, 0xb94e, v60
	v_fmamk_f16 v59, v34, 0x394e, v29
	v_add_f16_e32 v51, v51, v57
	v_add_f16_e32 v57, v54, v44
	v_mul_f16_e32 v60, 0xbb7b, v52
	v_add_f16_e32 v28, v39, v28
	v_fmac_f16_e32 v29, 0xb94e, v34
	v_fma_f16 v39, v62, 0xb9fd, -v58
	v_sub_f16_e32 v44, v54, v44
	v_fmamk_f16 v34, v57, 0xb5ac, v60
	v_mul_f16_e32 v54, 0xb5ac, v28
	v_add_f16_e32 v29, v29, v30
	v_mul_f16_e32 v30, 0x394e, v52
	v_add_f16_e32 v45, v45, v55
	v_fmamk_f16 v55, v62, 0xb9fd, v58
	v_add_f16_e32 v31, v39, v31
	v_add_f16_e32 v27, v34, v27
	v_fmamk_f16 v34, v44, 0x3b7b, v54
	v_fma_f16 v39, v57, 0xb5ac, -v60
	v_fmac_f16_e32 v54, 0xbb7b, v44
	v_mul_f16_e32 v58, 0xb9fd, v28
	v_fmamk_f16 v60, v57, 0xb9fd, v30
	v_add_f16_e32 v34, v34, v35
	v_add_f16_e32 v35, v39, v37
	;; [unrolled: 1-line block ×3, first 2 shown]
	v_fmamk_f16 v38, v44, 0xb94e, v58
	v_add_f16_e32 v39, v60, v41
	v_mul_f16_e32 v41, 0x3770, v52
	v_fma_f16 v30, v57, 0xb9fd, -v30
	v_fmac_f16_e32 v58, 0x394e, v44
	v_add_f16_e32 v38, v38, v40
	v_mul_f16_e32 v40, 0x3b15, v28
	v_fmamk_f16 v54, v57, 0x3b15, v41
	v_add_f16_e32 v30, v30, v32
	v_add_f16_e32 v32, v58, v33
	v_mul_f16_e32 v33, 0xbbf1, v52
	v_fmamk_f16 v58, v44, 0xb770, v40
	v_add_f16_e32 v48, v54, v48
	v_fma_f16 v41, v57, 0x3b15, -v41
	v_fmac_f16_e32 v40, 0x3770, v44
	v_fmamk_f16 v54, v57, 0x2fb7, v33
	v_fma_f16 v33, v57, 0x2fb7, -v33
	v_add_f16_e32 v61, v61, v65
	v_add_f16_e32 v41, v41, v43
	;; [unrolled: 1-line block ×4, first 2 shown]
	v_mul_f16_e32 v43, 0x33a8, v52
	v_mul_f16_e32 v54, 0xbbc4, v28
	v_add_f16_e32 v47, v58, v47
	v_mul_f16_e32 v58, 0x2fb7, v28
	v_add_f16_e32 v33, v33, v36
	v_fmamk_f16 v60, v57, 0xbbc4, v43
	v_fmamk_f16 v36, v44, 0xb3a8, v54
	v_mul_f16_e32 v52, 0x3a95, v52
	v_fma_f16 v43, v57, 0xbbc4, -v43
	v_add_f16_e32 v55, v55, v61
	v_fmamk_f16 v46, v44, 0x3bf1, v58
	v_fmac_f16_e32 v58, 0xbbf1, v44
	v_add_f16_e32 v36, v36, v45
	v_mul_f16_e32 v28, 0x388b, v28
	v_fmac_f16_e32 v54, 0x33a8, v44
	v_fmamk_f16 v45, v57, 0x388b, v52
	v_add_f16_e32 v43, v43, v49
	v_sub_f16_e32 v49, v24, v26
	v_add_f16_e32 v46, v46, v50
	v_add_f16_e32 v50, v58, v53
	;; [unrolled: 1-line block ×3, first 2 shown]
	v_fmamk_f16 v56, v44, 0xba95, v28
	v_add_f16_e32 v51, v54, v51
	v_add_f16_e32 v45, v45, v55
	;; [unrolled: 1-line block ×3, first 2 shown]
	v_mul_f16_e32 v55, 0xb94e, v49
	v_add_f16_e32 v24, v24, v26
	v_fmac_f16_e32 v28, 0x3a95, v44
	v_fma_f16 v26, v57, 0x388b, -v52
	v_sub_f16_e32 v23, v23, v25
	v_fmamk_f16 v44, v54, 0xb9fd, v55
	v_mul_f16_e32 v25, 0xb9fd, v24
	v_add_f16_e32 v28, v28, v29
	v_mul_f16_e32 v29, 0x3bf1, v49
	v_add_f16_e32 v26, v26, v31
	v_add_f16_e32 v27, v44, v27
	v_fmamk_f16 v31, v23, 0x394e, v25
	v_fma_f16 v44, v54, 0xb9fd, -v55
	v_fmac_f16_e32 v25, 0xb94e, v23
	v_mul_f16_e32 v52, 0x2fb7, v24
	v_fmamk_f16 v55, v54, 0x2fb7, v29
	v_add_f16_e32 v31, v31, v34
	v_add_f16_e32 v34, v44, v35
	;; [unrolled: 1-line block ×3, first 2 shown]
	v_fmamk_f16 v35, v23, 0xbbf1, v52
	v_add_f16_e32 v37, v55, v39
	v_mul_f16_e32 v39, 0xba95, v49
	v_fma_f16 v29, v54, 0x2fb7, -v29
	v_fmac_f16_e32 v52, 0x3bf1, v23
	v_add_f16_e32 v35, v35, v38
	v_mul_f16_e32 v38, 0x388b, v24
	v_fmamk_f16 v44, v54, 0x388b, v39
	v_add_f16_e32 v29, v29, v30
	v_add_f16_e32 v30, v52, v32
	v_mul_f16_e32 v32, 0x33a8, v49
	v_fmamk_f16 v52, v23, 0x3a95, v38
	v_add_f16_e32 v44, v44, v48
	v_fma_f16 v39, v54, 0x388b, -v39
	v_fmac_f16_e32 v38, 0xba95, v23
	v_fmamk_f16 v48, v54, 0xbbc4, v32
	v_fma_f16 v32, v54, 0xbbc4, -v32
	v_add_f16_e32 v47, v52, v47
	v_add_f16_e32 v39, v39, v41
	;; [unrolled: 1-line block ×4, first 2 shown]
	v_mul_f16_e32 v41, 0x3770, v49
	v_mul_f16_e32 v48, 0x3b15, v24
	v_add_f16_e32 v32, v32, v33
	v_mul_f16_e32 v49, 0xbb7b, v49
	v_mul_f16_e32 v52, 0xbbc4, v24
	v_fmamk_f16 v55, v54, 0x3b15, v41
	v_fmamk_f16 v33, v23, 0xb770, v48
	v_fma_f16 v41, v54, 0x3b15, -v41
	v_fmac_f16_e32 v48, 0x3770, v23
	v_fmamk_f16 v42, v23, 0xb3a8, v52
	v_fmac_f16_e32 v52, 0x33a8, v23
	v_add_f16_e32 v33, v33, v36
	v_fmamk_f16 v36, v54, 0xb5ac, v49
	v_add_f16_e32 v41, v41, v43
	v_sub_f16_e32 v43, v12, v13
	v_mul_f16_e32 v24, 0xb5ac, v24
	v_add_f16_e32 v48, v48, v51
	v_add_f16_e32 v36, v36, v45
	;; [unrolled: 1-line block ×3, first 2 shown]
	v_mul_f16_e32 v51, 0xb3a8, v43
	v_add_f16_e32 v12, v12, v13
	v_add_f16_e32 v42, v42, v46
	;; [unrolled: 1-line block ×3, first 2 shown]
	v_fmamk_f16 v52, v23, 0x3b7b, v24
	v_fma_f16 v13, v54, 0xb5ac, -v49
	v_fmac_f16_e32 v24, 0xbb7b, v23
	v_fmamk_f16 v23, v45, 0xbbc4, v51
	v_sub_f16_e32 v10, v10, v11
	v_mul_f16_e32 v11, 0xbbc4, v12
	v_add_f16_e32 v13, v13, v26
	v_add_f16_e32 v26, v24, v28
	;; [unrolled: 1-line block ×3, first 2 shown]
	v_mul_f16_e32 v28, 0x3770, v43
	v_fmamk_f16 v23, v10, 0x33a8, v11
	v_fma_f16 v24, v45, 0xbbc4, -v51
	v_fmac_f16_e32 v11, 0xb3a8, v10
	v_mul_f16_e32 v49, 0x3b15, v12
	v_fmamk_f16 v51, v45, 0x3b15, v28
	v_add_f16_e32 v31, v23, v31
	v_add_f16_e32 v23, v24, v34
	;; [unrolled: 1-line block ×3, first 2 shown]
	v_fmamk_f16 v11, v10, 0xb770, v49
	v_mul_f16_e32 v34, 0xb94e, v43
	v_fma_f16 v28, v45, 0x3b15, -v28
	v_fmac_f16_e32 v49, 0x3770, v10
	v_add_f16_e32 v25, v51, v37
	v_add_f16_e32 v11, v11, v35
	v_mul_f16_e32 v35, 0xb9fd, v12
	v_fmamk_f16 v37, v45, 0xb9fd, v34
	v_add_f16_e32 v28, v28, v29
	v_add_f16_e32 v29, v49, v30
	v_mul_f16_e32 v30, 0x3a95, v43
	v_fmamk_f16 v49, v10, 0x394e, v35
	v_add_f16_e32 v37, v37, v44
	v_fmac_f16_e32 v35, 0xb94e, v10
	v_add_f16_e32 v63, v63, v67
	v_fmamk_f16 v44, v45, 0x388b, v30
	v_fma_f16 v34, v45, 0xb9fd, -v34
	v_fma_f16 v30, v45, 0x388b, -v30
	v_add_f16_e32 v35, v35, v38
	v_add_f16_e32 v59, v59, v63
	;; [unrolled: 1-line block ×3, first 2 shown]
	v_mul_f16_e32 v44, 0xb5ac, v12
	v_add_f16_e32 v34, v34, v39
	v_mul_f16_e32 v39, 0xbb7b, v43
	v_add_f16_e32 v30, v30, v32
	v_add_f16_e32 v47, v49, v47
	v_fmamk_f16 v32, v10, 0x3b7b, v44
	v_mul_f16_e32 v49, 0x388b, v12
	v_add_f16_e32 v56, v56, v59
	v_fmamk_f16 v51, v45, 0xb5ac, v39
	v_fma_f16 v39, v45, 0xb5ac, -v39
	v_fmac_f16_e32 v44, 0xbb7b, v10
	v_add_f16_e32 v32, v32, v33
	v_mul_f16_e32 v33, 0x3bf1, v43
	v_mul_f16_e32 v12, 0x2fb7, v12
	v_add_f16_e32 v50, v55, v53
	v_fmamk_f16 v40, v10, 0xba95, v49
	v_fmac_f16_e32 v49, 0x3a95, v10
	v_add_f16_e32 v52, v52, v56
	v_add_f16_e32 v39, v39, v41
	;; [unrolled: 1-line block ×3, first 2 shown]
	v_fmamk_f16 v43, v45, 0x2fb7, v33
	v_fmamk_f16 v44, v10, 0xbbf1, v12
	v_fma_f16 v33, v45, 0x2fb7, -v33
	v_fmac_f16_e32 v12, 0x3bf1, v10
	v_add_f16_e32 v40, v40, v42
	v_add_f16_e32 v42, v49, v46
	;; [unrolled: 1-line block ×3, first 2 shown]
	v_pack_b32_f16 v4, v8, v9
	v_pack_b32_f16 v8, v27, v31
	v_add_f16_e32 v10, v43, v36
	v_add_f16_e32 v36, v44, v52
	;; [unrolled: 1-line block ×4, first 2 shown]
	v_pack_b32_f16 v9, v25, v11
	v_pack_b32_f16 v11, v37, v47
	ds_store_2addr_b32 v2, v4, v8 offset1:13
	ds_store_2addr_b32 v2, v9, v11 offset0:26 offset1:39
	v_pack_b32_f16 v4, v38, v40
	v_pack_b32_f16 v8, v46, v32
	;; [unrolled: 1-line block ×9, first 2 shown]
	ds_store_2addr_b32 v2, v4, v8 offset0:52 offset1:65
	ds_store_2addr_b32 v2, v9, v10 offset0:78 offset1:91
	;; [unrolled: 1-line block ×4, first 2 shown]
	ds_store_b32 v2, v26 offset:624
	v_add_nc_u32_e32 v2, 0x200, v6
	s_waitcnt lgkmcnt(0)
	s_barrier
	buffer_gl0_inv
	ds_load_2addr_b32 v[10:11], v6 offset1:169
	ds_load_2addr_b32 v[8:9], v5 offset0:82 offset1:134
	ds_load_2addr_b32 v[12:13], v5 offset0:186 offset1:251
	;; [unrolled: 1-line block ×4, first 2 shown]
	ds_load_b32 v27, v21
	ds_load_b32 v28, v22
                                        ; implicit-def: $vgpr21
                                        ; implicit-def: $vgpr2
                                        ; implicit-def: $vgpr25
                                        ; implicit-def: $vgpr26
                                        ; implicit-def: $vgpr22
	s_and_saveexec_b32 s1, s0
	s_cbranch_execz .LBB0_15
; %bb.14:
	v_mul_i32_i24_e32 v2, 0xffffffd0, v16
	s_delay_alu instid0(VALU_DEP_1) | instskip(NEXT) | instid1(VALU_DEP_1)
	v_add_nc_u32_e32 v21, v3, v2
	v_add_nc_u32_e32 v2, 0x400, v21
	ds_load_b32 v23, v15
	ds_load_2addr_b32 v[2:3], v2 offset0:69 offset1:238
	ds_load_b32 v22, v21 offset:2652
	s_waitcnt lgkmcnt(2)
	v_lshrrev_b32_e32 v24, 16, v23
	s_waitcnt lgkmcnt(1)
	v_lshrrev_b32_e32 v21, 16, v2
	v_lshrrev_b32_e32 v25, 16, v3
	s_waitcnt lgkmcnt(0)
	v_lshrrev_b32_e32 v26, 16, v22
.LBB0_15:
	s_or_b32 exec_lo, exec_lo, s1
	s_and_saveexec_b32 s1, vcc_lo
	s_cbranch_execz .LBB0_18
; %bb.16:
	v_mul_i32_i24_e32 v14, 3, v14
	v_dual_mov_b32 v15, 0 :: v_dual_add_nc_u32 v58, 0xa9, v16
	v_mul_u32_u24_e32 v29, 3, v16
	v_mad_u64_u32 v[38:39], null, s8, v16, 0
	s_delay_alu instid0(VALU_DEP_3) | instskip(SKIP_1) | instid1(VALU_DEP_4)
	v_lshlrev_b64 v[32:33], 2, v[14:15]
	v_mul_i32_i24_e32 v14, 3, v20
	v_lshlrev_b32_e32 v29, 2, v29
	v_mad_u64_u32 v[40:41], null, s8, v18, 0
	v_add_nc_u32_e32 v59, 0x152, v16
	s_delay_alu instid0(VALU_DEP_4)
	v_lshlrev_b64 v[35:36], 2, v[14:15]
	v_add_co_u32 v32, vcc_lo, s4, v32
	v_add_co_ci_u32_e32 v33, vcc_lo, s5, v33, vcc_lo
	v_mov_b32_e32 v20, v41
	v_mov_b32_e32 v14, v39
	s_clause 0x1
	global_load_b96 v[29:31], v29, s[4:5] offset:624
	global_load_b96 v[32:34], v[32:33], off offset:624
	v_add_co_u32 v35, vcc_lo, s4, v35
	v_add_co_ci_u32_e32 v36, vcc_lo, s5, v36, vcc_lo
	v_mad_u64_u32 v[44:45], null, s8, v59, 0
	v_mul_hi_u32 v54, 0x60f25deb, v19
	global_load_b96 v[35:37], v[35:36], off offset:624
	v_mad_u64_u32 v[42:43], null, s8, v58, 0
	v_add_nc_u32_e32 v60, 0x1fb, v16
	v_add_nc_u32_e32 v61, 0xdd, v16
	v_mov_b32_e32 v39, v45
	s_waitcnt lgkmcnt(5)
	v_lshrrev_b32_e32 v75, 16, v8
	v_lshrrev_b32_e32 v57, 6, v54
	v_mad_u64_u32 v[46:47], null, s8, v60, 0
	v_mad_u64_u32 v[54:55], null, s9, v16, v[14:15]
	v_mov_b32_e32 v14, v43
	v_mad_u64_u32 v[48:49], null, s8, v61, 0
	s_delay_alu instid0(VALU_DEP_4) | instskip(SKIP_2) | instid1(VALU_DEP_3)
	v_dual_mov_b32 v41, v47 :: v_dual_add_nc_u32 v62, 0x186, v16
	v_add_nc_u32_e32 v63, 0x22f, v16
	v_mad_u64_u32 v[55:56], null, s9, v18, v[20:21]
	v_mad_u64_u32 v[50:51], null, s8, v62, 0
	v_mov_b32_e32 v18, v49
	s_delay_alu instid0(VALU_DEP_4)
	v_mad_u64_u32 v[52:53], null, s8, v63, 0
	v_mad_u32_u24 v78, 0x1fb, v57, v19
	v_mad_u64_u32 v[56:57], null, s9, v58, v[14:15]
	v_mov_b32_e32 v20, v51
	v_mad_u64_u32 v[57:58], null, s9, v59, v[39:40]
	v_mov_b32_e32 v43, v53
	v_mad_u64_u32 v[58:59], null, s9, v60, v[41:42]
	v_mad_u64_u32 v[59:60], null, s9, v61, v[18:19]
	;; [unrolled: 1-line block ×5, first 2 shown]
	v_add_nc_u32_e32 v79, 0xa9, v78
	v_dual_mov_b32 v39, v54 :: v_dual_add_nc_u32 v80, 0x152, v78
	v_dual_mov_b32 v41, v55 :: v_dual_mov_b32 v14, v61
	s_delay_alu instid0(VALU_DEP_3) | instskip(NEXT) | instid1(VALU_DEP_3)
	v_mad_u64_u32 v[54:55], null, s8, v79, 0
	v_mad_u64_u32 v[62:63], null, s8, v80, 0
	v_add_nc_u32_e32 v81, 0x1fb, v78
	v_mov_b32_e32 v43, v56
	v_mov_b32_e32 v45, v57
	;; [unrolled: 1-line block ×4, first 2 shown]
	v_dual_mov_b32 v51, v18 :: v_dual_mov_b32 v20, v63
	v_mov_b32_e32 v53, v19
	v_lshlrev_b64 v[18:19], 2, v[42:43]
	v_lshlrev_b64 v[42:43], 2, v[44:45]
	v_lshlrev_b64 v[44:45], 2, v[46:47]
	v_lshlrev_b64 v[46:47], 2, v[48:49]
	v_lshlrev_b64 v[48:49], 2, v[50:51]
	v_lshlrev_b64 v[50:51], 2, v[52:53]
	v_mad_u64_u32 v[52:53], null, s9, v78, v[14:15]
	v_mov_b32_e32 v14, v55
	v_mad_u64_u32 v[64:65], null, s8, v81, 0
	v_lshrrev_b32_e32 v76, 16, v11
	s_waitcnt lgkmcnt(4)
	v_lshrrev_b32_e32 v77, 16, v13
	v_mad_u64_u32 v[55:56], null, s9, v79, v[14:15]
	v_mad_u64_u32 v[56:57], null, s9, v80, v[20:21]
	v_mov_b32_e32 v53, v65
	v_mov_b32_e32 v61, v52
	v_lshrrev_b32_e32 v69, 16, v12
	s_waitcnt lgkmcnt(2)
	v_lshrrev_b32_e32 v70, 16, v7
	v_lshrrev_b32_e32 v71, 16, v5
	v_mad_u64_u32 v[57:58], null, s9, v81, v[53:54]
	v_lshlrev_b64 v[52:53], 2, v[60:61]
	v_mov_b32_e32 v63, v56
	v_lshlrev_b64 v[38:39], 2, v[38:39]
	v_lshrrev_b32_e32 v66, 16, v10
	v_lshrrev_b32_e32 v72, 16, v9
	;; [unrolled: 1-line block ×3, first 2 shown]
	v_mov_b32_e32 v65, v57
	v_lshlrev_b64 v[56:57], 2, v[62:63]
	v_lshrrev_b32_e32 v74, 16, v6
	v_add_co_u32 v0, vcc_lo, s10, v0
	s_delay_alu instid0(VALU_DEP_4) | instskip(SKIP_2) | instid1(VALU_DEP_4)
	v_lshlrev_b64 v[58:59], 2, v[64:65]
	v_add_co_ci_u32_e32 v1, vcc_lo, s11, v1, vcc_lo
	v_lshlrev_b64 v[40:41], 2, v[40:41]
	v_add_co_u32 v38, vcc_lo, v0, v38
	s_delay_alu instid0(VALU_DEP_3) | instskip(SKIP_2) | instid1(VALU_DEP_4)
	v_add_co_ci_u32_e32 v39, vcc_lo, v1, v39, vcc_lo
	s_waitcnt lgkmcnt(1)
	v_lshrrev_b32_e32 v67, 16, v27
	v_add_co_u32 v40, vcc_lo, v0, v40
	s_waitcnt lgkmcnt(0)
	v_lshrrev_b32_e32 v68, 16, v28
	v_add_co_ci_u32_e32 v41, vcc_lo, v1, v41, vcc_lo
	v_add_co_u32 v18, vcc_lo, v0, v18
	v_add_co_ci_u32_e32 v19, vcc_lo, v1, v19, vcc_lo
	v_add_co_u32 v42, vcc_lo, v0, v42
	;; [unrolled: 2-line block ×6, first 2 shown]
	v_lshlrev_b64 v[54:55], 2, v[54:55]
	v_add_co_ci_u32_e32 v51, vcc_lo, v1, v51, vcc_lo
	v_add_co_u32 v52, vcc_lo, v0, v52
	v_add_co_ci_u32_e32 v53, vcc_lo, v1, v53, vcc_lo
	s_delay_alu instid0(VALU_DEP_4)
	v_add_co_u32 v54, vcc_lo, v0, v54
	v_add_co_ci_u32_e32 v55, vcc_lo, v1, v55, vcc_lo
	v_add_co_u32 v56, vcc_lo, v0, v56
	v_add_co_ci_u32_e32 v57, vcc_lo, v1, v57, vcc_lo
	;; [unrolled: 2-line block ×3, first 2 shown]
	s_waitcnt vmcnt(2)
	v_lshrrev_b32_e32 v14, 16, v29
	v_lshrrev_b32_e32 v20, 16, v30
	;; [unrolled: 1-line block ×3, first 2 shown]
	s_waitcnt vmcnt(1)
	v_lshrrev_b32_e32 v64, 16, v32
	v_lshrrev_b32_e32 v65, 16, v33
	v_mul_f16_e32 v62, v14, v11
	v_mul_f16_e32 v61, v20, v75
	;; [unrolled: 1-line block ×6, first 2 shown]
	v_lshrrev_b32_e32 v78, 16, v34
	v_fmac_f16_e32 v61, v30, v8
	v_fma_f16 v8, v29, v76, -v62
	v_fma_f16 v62, v31, v77, -v63
	v_fma_f16 v20, v30, v75, -v20
	v_fmac_f16_e32 v14, v29, v11
	v_fmac_f16_e32 v60, v31, v13
	v_mul_f16_e32 v11, v69, v65
	v_mul_f16_e32 v13, v64, v5
	;; [unrolled: 1-line block ×6, first 2 shown]
	s_waitcnt vmcnt(0)
	v_lshrrev_b32_e32 v64, 16, v35
	v_lshrrev_b32_e32 v65, 16, v36
	;; [unrolled: 1-line block ×3, first 2 shown]
	v_sub_f16_e32 v61, v10, v61
	v_sub_f16_e32 v62, v8, v62
	;; [unrolled: 1-line block ×4, first 2 shown]
	v_fmac_f16_e32 v11, v12, v33
	v_fma_f16 v12, v32, v71, -v13
	v_fma_f16 v13, v70, v34, -v29
	;; [unrolled: 1-line block ×3, first 2 shown]
	v_fmac_f16_e32 v31, v32, v5
	v_fmac_f16_e32 v63, v7, v34
	v_mul_f16_e32 v5, v65, v72
	v_mul_f16_e32 v7, v64, v4
	;; [unrolled: 1-line block ×6, first 2 shown]
	v_add_f16_e32 v64, v61, v62
	v_sub_f16_e32 v65, v20, v60
	v_fma_f16 v10, v10, 2.0, -v61
	v_fma_f16 v14, v14, 2.0, -v60
	;; [unrolled: 1-line block ×4, first 2 shown]
	v_sub_f16_e32 v11, v28, v11
	v_sub_f16_e32 v13, v12, v13
	;; [unrolled: 1-line block ×3, first 2 shown]
	v_fmac_f16_e32 v5, v36, v9
	v_fma_f16 v7, v35, v73, -v7
	v_fma_f16 v9, v37, v74, -v30
	;; [unrolled: 1-line block ×3, first 2 shown]
	v_fmac_f16_e32 v33, v35, v4
	v_fmac_f16_e32 v34, v37, v6
	v_sub_f16_e32 v29, v68, v29
	v_fma_f16 v4, v61, 2.0, -v64
	v_fma_f16 v6, v20, 2.0, -v65
	v_sub_f16_e32 v14, v10, v14
	v_sub_f16_e32 v8, v60, v8
	v_add_f16_e32 v32, v11, v13
	v_fma_f16 v28, v28, 2.0, -v11
	v_fma_f16 v31, v31, 2.0, -v62
	;; [unrolled: 1-line block ×3, first 2 shown]
	v_sub_f16_e32 v5, v27, v5
	v_sub_f16_e32 v9, v7, v9
	;; [unrolled: 1-line block ×5, first 2 shown]
	v_fma_f16 v10, v10, 2.0, -v14
	v_pack_b32_f16 v4, v4, v6
	v_pack_b32_f16 v6, v14, v8
	v_sub_f16_e32 v14, v28, v31
	v_sub_f16_e32 v31, v13, v30
	v_fma_f16 v27, v27, 2.0, -v5
	v_fma_f16 v30, v33, 2.0, -v30
	;; [unrolled: 1-line block ×8, first 2 shown]
	v_sub_f16_e32 v30, v27, v30
	v_sub_f16_e32 v7, v33, v7
	v_add_f16_e32 v29, v5, v9
	v_sub_f16_e32 v12, v36, v12
	v_pack_b32_f16 v10, v10, v34
	v_pack_b32_f16 v8, v8, v11
	v_fma_f16 v11, v27, 2.0, -v30
	v_fma_f16 v27, v33, 2.0, -v7
	;; [unrolled: 1-line block ×4, first 2 shown]
	v_pack_b32_f16 v9, v32, v35
	v_fma_f16 v28, v28, 2.0, -v14
	v_fma_f16 v32, v36, 2.0, -v12
	v_pack_b32_f16 v20, v64, v65
	s_clause 0x2
	global_store_b32 v[38:39], v10, off
	global_store_b32 v[18:19], v4, off
	global_store_b32 v[42:43], v6, off
	v_pack_b32_f16 v4, v11, v27
	v_pack_b32_f16 v5, v5, v13
	;; [unrolled: 1-line block ×6, first 2 shown]
	s_clause 0x8
	global_store_b32 v[44:45], v20, off
	global_store_b32 v[40:41], v4, off
	;; [unrolled: 1-line block ×9, first 2 shown]
	s_and_b32 exec_lo, exec_lo, s0
	s_cbranch_execz .LBB0_18
; %bb.17:
	v_add_nc_u32_e32 v4, -13, v16
	v_add_nc_u32_e32 v18, 0x145, v16
	v_add_nc_u32_e32 v19, 0x1ee, v16
	;; [unrolled: 1-line block ×3, first 2 shown]
	s_delay_alu instid0(VALU_DEP_4) | instskip(SKIP_3) | instid1(VALU_DEP_4)
	v_cndmask_b32_e64 v4, v4, v17, s0
	v_add_nc_u32_e32 v17, 0x9c, v16
	v_mad_u64_u32 v[9:10], null, s8, v18, 0
	v_mad_u64_u32 v[11:12], null, s8, v19, 0
	v_mul_i32_i24_e32 v14, 3, v4
	s_delay_alu instid0(VALU_DEP_4) | instskip(NEXT) | instid1(VALU_DEP_2)
	v_mad_u64_u32 v[7:8], null, s8, v17, 0
	v_lshlrev_b64 v[4:5], 2, v[14:15]
	v_mad_u64_u32 v[13:14], null, s8, v20, 0
	s_delay_alu instid0(VALU_DEP_3) | instskip(NEXT) | instid1(VALU_DEP_3)
	v_mad_u64_u32 v[15:16], null, s9, v17, v[8:9]
	v_add_co_u32 v4, vcc_lo, s4, v4
	s_delay_alu instid0(VALU_DEP_4) | instskip(SKIP_1) | instid1(VALU_DEP_4)
	v_add_co_ci_u32_e32 v5, vcc_lo, s5, v5, vcc_lo
	v_mad_u64_u32 v[16:17], null, s9, v18, v[10:11]
	v_mov_b32_e32 v8, v15
	global_load_b96 v[4:6], v[4:5], off offset:624
	v_lshlrev_b64 v[7:8], 2, v[7:8]
	v_mov_b32_e32 v10, v16
	v_mad_u64_u32 v[17:18], null, s9, v19, v[12:13]
	v_mad_u64_u32 v[18:19], null, s9, v20, v[14:15]
	s_delay_alu instid0(VALU_DEP_3) | instskip(NEXT) | instid1(VALU_DEP_3)
	v_lshlrev_b64 v[9:10], 2, v[9:10]
	v_mov_b32_e32 v12, v17
	s_delay_alu instid0(VALU_DEP_3) | instskip(NEXT) | instid1(VALU_DEP_2)
	v_mov_b32_e32 v14, v18
	v_lshlrev_b64 v[11:12], 2, v[11:12]
	s_waitcnt vmcnt(0)
	v_lshrrev_b32_e32 v15, 16, v4
	v_lshrrev_b32_e32 v16, 16, v5
	;; [unrolled: 1-line block ×3, first 2 shown]
	s_delay_alu instid0(VALU_DEP_3) | instskip(SKIP_1) | instid1(VALU_DEP_4)
	v_mul_f16_e32 v18, v21, v15
	v_mul_f16_e32 v15, v2, v15
	;; [unrolled: 1-line block ×6, first 2 shown]
	v_fmac_f16_e32 v18, v2, v4
	v_fma_f16 v15, v21, v4, -v15
	v_fmac_f16_e32 v19, v3, v5
	v_fma_f16 v4, v25, v5, -v16
	;; [unrolled: 2-line block ×3, first 2 shown]
	v_lshlrev_b64 v[2:3], 2, v[13:14]
	v_sub_f16_e32 v13, v23, v19
	v_sub_f16_e32 v14, v24, v4
	;; [unrolled: 1-line block ×4, first 2 shown]
	v_add_co_u32 v4, vcc_lo, v0, v7
	v_add_co_ci_u32_e32 v5, vcc_lo, v1, v8, vcc_lo
	v_fma_f16 v19, v23, 2.0, -v13
	v_fma_f16 v20, v24, 2.0, -v14
	;; [unrolled: 1-line block ×4, first 2 shown]
	v_add_co_u32 v6, vcc_lo, v0, v9
	v_add_co_ci_u32_e32 v7, vcc_lo, v1, v10, vcc_lo
	v_add_f16_e32 v10, v13, v17
	v_sub_f16_e32 v16, v14, v16
	v_sub_f16_e32 v17, v19, v8
	;; [unrolled: 1-line block ×3, first 2 shown]
	v_add_co_u32 v8, vcc_lo, v0, v11
	v_add_co_ci_u32_e32 v9, vcc_lo, v1, v12, vcc_lo
	v_fma_f16 v11, v13, 2.0, -v10
	v_fma_f16 v12, v14, 2.0, -v16
	;; [unrolled: 1-line block ×4, first 2 shown]
	v_add_co_u32 v0, vcc_lo, v0, v2
	v_add_co_ci_u32_e32 v1, vcc_lo, v1, v3, vcc_lo
	s_delay_alu instid0(VALU_DEP_3)
	v_pack_b32_f16 v2, v13, v14
	v_pack_b32_f16 v3, v11, v12
	;; [unrolled: 1-line block ×4, first 2 shown]
	s_clause 0x3
	global_store_b32 v[4:5], v2, off
	global_store_b32 v[6:7], v3, off
	;; [unrolled: 1-line block ×4, first 2 shown]
.LBB0_18:
	s_nop 0
	s_sendmsg sendmsg(MSG_DEALLOC_VGPRS)
	s_endpgm
	.section	.rodata,"a",@progbits
	.p2align	6, 0x0
	.amdhsa_kernel fft_rtc_back_len676_factors_13_13_4_wgs_52_tpt_52_half_ip_CI_sbrr_dirReg
		.amdhsa_group_segment_fixed_size 0
		.amdhsa_private_segment_fixed_size 0
		.amdhsa_kernarg_size 88
		.amdhsa_user_sgpr_count 15
		.amdhsa_user_sgpr_dispatch_ptr 0
		.amdhsa_user_sgpr_queue_ptr 0
		.amdhsa_user_sgpr_kernarg_segment_ptr 1
		.amdhsa_user_sgpr_dispatch_id 0
		.amdhsa_user_sgpr_private_segment_size 0
		.amdhsa_wavefront_size32 1
		.amdhsa_uses_dynamic_stack 0
		.amdhsa_enable_private_segment 0
		.amdhsa_system_sgpr_workgroup_id_x 1
		.amdhsa_system_sgpr_workgroup_id_y 0
		.amdhsa_system_sgpr_workgroup_id_z 0
		.amdhsa_system_sgpr_workgroup_info 0
		.amdhsa_system_vgpr_workitem_id 0
		.amdhsa_next_free_vgpr 96
		.amdhsa_next_free_sgpr 23
		.amdhsa_reserve_vcc 1
		.amdhsa_float_round_mode_32 0
		.amdhsa_float_round_mode_16_64 0
		.amdhsa_float_denorm_mode_32 3
		.amdhsa_float_denorm_mode_16_64 3
		.amdhsa_dx10_clamp 1
		.amdhsa_ieee_mode 1
		.amdhsa_fp16_overflow 0
		.amdhsa_workgroup_processor_mode 1
		.amdhsa_memory_ordered 1
		.amdhsa_forward_progress 0
		.amdhsa_shared_vgpr_count 0
		.amdhsa_exception_fp_ieee_invalid_op 0
		.amdhsa_exception_fp_denorm_src 0
		.amdhsa_exception_fp_ieee_div_zero 0
		.amdhsa_exception_fp_ieee_overflow 0
		.amdhsa_exception_fp_ieee_underflow 0
		.amdhsa_exception_fp_ieee_inexact 0
		.amdhsa_exception_int_div_zero 0
	.end_amdhsa_kernel
	.text
.Lfunc_end0:
	.size	fft_rtc_back_len676_factors_13_13_4_wgs_52_tpt_52_half_ip_CI_sbrr_dirReg, .Lfunc_end0-fft_rtc_back_len676_factors_13_13_4_wgs_52_tpt_52_half_ip_CI_sbrr_dirReg
                                        ; -- End function
	.section	.AMDGPU.csdata,"",@progbits
; Kernel info:
; codeLenInByte = 10852
; NumSgprs: 25
; NumVgprs: 96
; ScratchSize: 0
; MemoryBound: 0
; FloatMode: 240
; IeeeMode: 1
; LDSByteSize: 0 bytes/workgroup (compile time only)
; SGPRBlocks: 3
; VGPRBlocks: 11
; NumSGPRsForWavesPerEU: 25
; NumVGPRsForWavesPerEU: 96
; Occupancy: 16
; WaveLimiterHint : 1
; COMPUTE_PGM_RSRC2:SCRATCH_EN: 0
; COMPUTE_PGM_RSRC2:USER_SGPR: 15
; COMPUTE_PGM_RSRC2:TRAP_HANDLER: 0
; COMPUTE_PGM_RSRC2:TGID_X_EN: 1
; COMPUTE_PGM_RSRC2:TGID_Y_EN: 0
; COMPUTE_PGM_RSRC2:TGID_Z_EN: 0
; COMPUTE_PGM_RSRC2:TIDIG_COMP_CNT: 0
	.text
	.p2alignl 7, 3214868480
	.fill 96, 4, 3214868480
	.type	__hip_cuid_39d4346bc32e4d10,@object ; @__hip_cuid_39d4346bc32e4d10
	.section	.bss,"aw",@nobits
	.globl	__hip_cuid_39d4346bc32e4d10
__hip_cuid_39d4346bc32e4d10:
	.byte	0                               ; 0x0
	.size	__hip_cuid_39d4346bc32e4d10, 1

	.ident	"AMD clang version 19.0.0git (https://github.com/RadeonOpenCompute/llvm-project roc-6.4.0 25133 c7fe45cf4b819c5991fe208aaa96edf142730f1d)"
	.section	".note.GNU-stack","",@progbits
	.addrsig
	.addrsig_sym __hip_cuid_39d4346bc32e4d10
	.amdgpu_metadata
---
amdhsa.kernels:
  - .args:
      - .actual_access:  read_only
        .address_space:  global
        .offset:         0
        .size:           8
        .value_kind:     global_buffer
      - .offset:         8
        .size:           8
        .value_kind:     by_value
      - .actual_access:  read_only
        .address_space:  global
        .offset:         16
        .size:           8
        .value_kind:     global_buffer
      - .actual_access:  read_only
        .address_space:  global
        .offset:         24
        .size:           8
        .value_kind:     global_buffer
      - .offset:         32
        .size:           8
        .value_kind:     by_value
      - .actual_access:  read_only
        .address_space:  global
        .offset:         40
        .size:           8
        .value_kind:     global_buffer
      - .actual_access:  read_only
        .address_space:  global
        .offset:         48
        .size:           8
        .value_kind:     global_buffer
      - .offset:         56
        .size:           4
        .value_kind:     by_value
      - .actual_access:  read_only
        .address_space:  global
        .offset:         64
        .size:           8
        .value_kind:     global_buffer
      - .actual_access:  read_only
        .address_space:  global
        .offset:         72
        .size:           8
        .value_kind:     global_buffer
      - .address_space:  global
        .offset:         80
        .size:           8
        .value_kind:     global_buffer
    .group_segment_fixed_size: 0
    .kernarg_segment_align: 8
    .kernarg_segment_size: 88
    .language:       OpenCL C
    .language_version:
      - 2
      - 0
    .max_flat_workgroup_size: 52
    .name:           fft_rtc_back_len676_factors_13_13_4_wgs_52_tpt_52_half_ip_CI_sbrr_dirReg
    .private_segment_fixed_size: 0
    .sgpr_count:     25
    .sgpr_spill_count: 0
    .symbol:         fft_rtc_back_len676_factors_13_13_4_wgs_52_tpt_52_half_ip_CI_sbrr_dirReg.kd
    .uniform_work_group_size: 1
    .uses_dynamic_stack: false
    .vgpr_count:     96
    .vgpr_spill_count: 0
    .wavefront_size: 32
    .workgroup_processor_mode: 1
amdhsa.target:   amdgcn-amd-amdhsa--gfx1100
amdhsa.version:
  - 1
  - 2
...

	.end_amdgpu_metadata
